;; amdgpu-corpus repo=pytorch/pytorch kind=compiled arch=gfx1100 opt=O3
	.text
	.amdgcn_target "amdgcn-amd-amdhsa--gfx1100"
	.amdhsa_code_object_version 6
	.section	.text._ZN2at6native12_GLOBAL__N_125multi_tensor_apply_kernelINS1_18TensorListMetadataILi4EEENS1_20TernaryOpListFunctorIdLi4ELi3ELi3EEEJNS0_11LerpFunctorIdEEEEEvT_T0_DpT1_,"axG",@progbits,_ZN2at6native12_GLOBAL__N_125multi_tensor_apply_kernelINS1_18TensorListMetadataILi4EEENS1_20TernaryOpListFunctorIdLi4ELi3ELi3EEEJNS0_11LerpFunctorIdEEEEEvT_T0_DpT1_,comdat
	.globl	_ZN2at6native12_GLOBAL__N_125multi_tensor_apply_kernelINS1_18TensorListMetadataILi4EEENS1_20TernaryOpListFunctorIdLi4ELi3ELi3EEEJNS0_11LerpFunctorIdEEEEEvT_T0_DpT1_ ; -- Begin function _ZN2at6native12_GLOBAL__N_125multi_tensor_apply_kernelINS1_18TensorListMetadataILi4EEENS1_20TernaryOpListFunctorIdLi4ELi3ELi3EEEJNS0_11LerpFunctorIdEEEEEvT_T0_DpT1_
	.p2align	8
	.type	_ZN2at6native12_GLOBAL__N_125multi_tensor_apply_kernelINS1_18TensorListMetadataILi4EEENS1_20TernaryOpListFunctorIdLi4ELi3ELi3EEEJNS0_11LerpFunctorIdEEEEEvT_T0_DpT1_,@function
_ZN2at6native12_GLOBAL__N_125multi_tensor_apply_kernelINS1_18TensorListMetadataILi4EEENS1_20TernaryOpListFunctorIdLi4ELi3ELi3EEEJNS0_11LerpFunctorIdEEEEEvT_T0_DpT1_: ; @_ZN2at6native12_GLOBAL__N_125multi_tensor_apply_kernelINS1_18TensorListMetadataILi4EEENS1_20TernaryOpListFunctorIdLi4ELi3ELi3EEEJNS0_11LerpFunctorIdEEEEEvT_T0_DpT1_
; %bb.0:
	v_mov_b32_e32 v1, s15
	s_add_u32 s2, s0, s15
	s_mul_hi_u32 s3, s15, 3
	s_mul_i32 s15, s15, 3
	s_addc_u32 s4, s1, 0
	global_load_u8 v1, v1, s[0:1] offset:1440
	s_add_u32 s2, s2, s15
	s_addc_u32 s3, s4, s3
	s_mov_b32 s27, 0
	s_load_b32 s6, s[2:3], 0x6e0
	s_mov_b32 s21, s27
	s_mov_b32 s29, s27
	s_waitcnt lgkmcnt(0)
	s_ashr_i32 s7, s6, 31
	s_waitcnt vmcnt(0)
	v_readfirstlane_b32 s5, v1
	s_delay_alu instid0(VALU_DEP_1)
	s_lshl_b32 s2, s5, 3
	s_lshl_b64 s[4:5], s[6:7], 19
	s_clause 0x4
	s_load_b64 s[10:11], s[0:1], s2 offset:0x0
	s_load_b64 s[12:13], s[0:1], s2 offset:0x120
	;; [unrolled: 1-line block ×5, first 2 shown]
	s_waitcnt lgkmcnt(0)
	s_add_u32 s3, s10, s4
	s_addc_u32 s8, s11, s5
	s_and_b32 s26, s3, 31
	s_add_u32 s9, s12, s4
	s_addc_u32 s18, s13, s5
	s_and_b32 s20, s9, 31
	s_delay_alu instid0(SALU_CYCLE_1)
	s_cmp_lg_u64 s[20:21], 0
	s_cselect_b32 s2, -1, 0
	s_add_u32 s19, s14, s4
	s_addc_u32 s20, s15, s5
	s_add_u32 s21, s16, s4
	s_addc_u32 s22, s17, s5
	s_or_b32 s23, s21, s19
	s_delay_alu instid0(SALU_CYCLE_1) | instskip(NEXT) | instid1(SALU_CYCLE_1)
	s_and_b32 s23, s23, 31
	s_cmp_lg_u32 s23, 0
	s_cselect_b32 s23, -1, 0
	s_lshl_b64 s[6:7], s[6:7], 16
	s_or_b32 s2, s23, s2
	s_sub_u32 s6, s24, s6
	s_subb_u32 s7, s25, s7
	s_and_b32 s28, s24, 3
	s_delay_alu instid0(SALU_CYCLE_1) | instskip(NEXT) | instid1(SALU_CYCLE_1)
	s_or_b64 s[24:25], s[26:27], s[28:29]
	s_cmp_lg_u64 s[24:25], 0
	s_cselect_b32 s23, -1, 0
	s_delay_alu instid0(SALU_CYCLE_1) | instskip(NEXT) | instid1(SALU_CYCLE_1)
	s_or_b32 s2, s2, s23
	s_and_not1_b32 vcc_lo, exec_lo, s2
	s_mov_b32 s2, -1
	s_cbranch_vccz .LBB0_21
; %bb.1:
	v_dual_mov_b32 v30, 0 :: v_dual_lshlrev_b32 v29, 2, v0
	s_mov_b32 s23, exec_lo
	s_delay_alu instid0(VALU_DEP_1)
	v_cmpx_gt_i64_e64 s[6:7], v[29:30]
	s_cbranch_execz .LBB0_20
; %bb.2:
	s_load_b32 s2, s[0:1], 0xbfc
	v_lshlrev_b32_e32 v31, 5, v0
	s_mov_b32 s24, 0
	s_waitcnt lgkmcnt(0)
	s_and_b32 s2, s2, 0xffff
	s_delay_alu instid0(SALU_CYCLE_1)
	v_add_lshl_u32 v29, v0, s2, 2
	s_lshl_b32 s25, s2, 2
	s_lshl_b32 s26, s2, 5
	s_branch .LBB0_4
.LBB0_3:                                ;   in Loop: Header=BB0_4 Depth=1
	s_or_b32 exec_lo, exec_lo, s2
	v_cmp_le_i64_e32 vcc_lo, s[6:7], v[29:30]
	v_cmp_lt_u64_e64 s2, 0xffff, v[29:30]
	v_add_co_u32 v5, s27, s21, v31
	s_delay_alu instid0(VALU_DEP_1)
	v_add_co_ci_u32_e64 v6, null, s22, 0, s27
	s_clause 0x1
	global_store_b128 v[5:6], v[1:4], off
	global_store_b128 v[5:6], v[17:20], off offset:16
	s_or_b32 s2, vcc_lo, s2
	s_add_u32 s3, s3, s26
	s_addc_u32 s8, s8, 0
	s_add_u32 s21, s21, s26
	s_addc_u32 s22, s22, 0
	s_add_u32 s9, s9, s26
	v_add_co_u32 v29, vcc_lo, v29, s25
	s_addc_u32 s18, s18, 0
	s_add_u32 s19, s19, s26
	v_add_co_ci_u32_e32 v30, vcc_lo, 0, v30, vcc_lo
	s_addc_u32 s20, s20, 0
	s_and_b32 s2, exec_lo, s2
	s_delay_alu instid0(SALU_CYCLE_1) | instskip(NEXT) | instid1(SALU_CYCLE_1)
	s_or_b32 s24, s2, s24
	s_and_not1_b32 exec_lo, exec_lo, s24
	s_cbranch_execz .LBB0_20
.LBB0_4:                                ; =>This Inner Loop Header: Depth=1
	v_add_co_u32 v1, s2, s3, v31
	s_delay_alu instid0(VALU_DEP_1) | instskip(SKIP_1) | instid1(VALU_DEP_1)
	v_add_co_ci_u32_e64 v2, null, s8, 0, s2
	v_add_co_u32 v3, s2, s19, v31
	v_add_co_ci_u32_e64 v4, null, s20, 0, s2
	v_add_co_u32 v5, s2, s9, v31
	s_delay_alu instid0(VALU_DEP_1)
	v_add_co_ci_u32_e64 v6, null, s18, 0, s2
	global_load_b128 v[17:20], v[1:2], off
	global_load_b128 v[21:24], v[3:4], off
	;; [unrolled: 1-line block ×3, first 2 shown]
	global_load_b128 v[9:12], v[1:2], off offset:16
	global_load_b128 v[13:16], v[5:6], off offset:16
	;; [unrolled: 1-line block ×3, first 2 shown]
                                        ; implicit-def: $vgpr1_vgpr2
	s_waitcnt vmcnt(4)
	v_cmp_nlt_f64_e64 s2, |v[21:22]|, 0.5
	s_waitcnt vmcnt(3)
	v_add_f64 v[3:4], v[25:26], -v[17:18]
	s_delay_alu instid0(VALU_DEP_2) | instskip(NEXT) | instid1(SALU_CYCLE_1)
	s_and_saveexec_b32 s27, s2
	s_xor_b32 s2, exec_lo, s27
; %bb.5:                                ;   in Loop: Header=BB0_4 Depth=1
	v_add_f64 v[1:2], -v[21:22], 1.0
	s_delay_alu instid0(VALU_DEP_1)
	v_fma_f64 v[1:2], -v[3:4], v[1:2], v[25:26]
                                        ; implicit-def: $vgpr3_vgpr4
; %bb.6:                                ;   in Loop: Header=BB0_4 Depth=1
	s_and_not1_saveexec_b32 s2, s2
; %bb.7:                                ;   in Loop: Header=BB0_4 Depth=1
	v_fma_f64 v[1:2], v[3:4], v[21:22], v[17:18]
; %bb.8:                                ;   in Loop: Header=BB0_4 Depth=1
	s_or_b32 exec_lo, exec_lo, s2
	v_cmp_nlt_f64_e64 s2, |v[23:24]|, 0.5
	v_add_f64 v[17:18], v[27:28], -v[19:20]
	s_delay_alu instid0(VALU_DEP_2) | instskip(NEXT) | instid1(SALU_CYCLE_1)
	s_and_saveexec_b32 s27, s2
	s_xor_b32 s2, exec_lo, s27
; %bb.9:                                ;   in Loop: Header=BB0_4 Depth=1
	v_add_f64 v[3:4], -v[23:24], 1.0
                                        ; implicit-def: $vgpr23_vgpr24
                                        ; implicit-def: $vgpr19_vgpr20
	s_delay_alu instid0(VALU_DEP_1)
	v_fma_f64 v[3:4], -v[17:18], v[3:4], v[27:28]
                                        ; implicit-def: $vgpr17_vgpr18
; %bb.10:                               ;   in Loop: Header=BB0_4 Depth=1
	s_and_not1_saveexec_b32 s2, s2
; %bb.11:                               ;   in Loop: Header=BB0_4 Depth=1
	v_fma_f64 v[3:4], v[17:18], v[23:24], v[19:20]
; %bb.12:                               ;   in Loop: Header=BB0_4 Depth=1
	s_or_b32 exec_lo, exec_lo, s2
	s_waitcnt vmcnt(0)
	v_cmp_nlt_f64_e64 s2, |v[5:6]|, 0.5
	v_add_f64 v[19:20], v[13:14], -v[9:10]
                                        ; implicit-def: $vgpr17_vgpr18
	s_delay_alu instid0(VALU_DEP_2) | instskip(NEXT) | instid1(SALU_CYCLE_1)
	s_and_saveexec_b32 s27, s2
	s_xor_b32 s2, exec_lo, s27
; %bb.13:                               ;   in Loop: Header=BB0_4 Depth=1
	v_add_f64 v[5:6], -v[5:6], 1.0
	s_delay_alu instid0(VALU_DEP_1)
	v_fma_f64 v[17:18], -v[19:20], v[5:6], v[13:14]
                                        ; implicit-def: $vgpr19_vgpr20
; %bb.14:                               ;   in Loop: Header=BB0_4 Depth=1
	s_and_not1_saveexec_b32 s2, s2
; %bb.15:                               ;   in Loop: Header=BB0_4 Depth=1
	v_fma_f64 v[17:18], v[19:20], v[5:6], v[9:10]
; %bb.16:                               ;   in Loop: Header=BB0_4 Depth=1
	s_or_b32 exec_lo, exec_lo, s2
	v_cmp_nlt_f64_e64 s2, |v[7:8]|, 0.5
	v_add_f64 v[5:6], v[15:16], -v[11:12]
	s_delay_alu instid0(VALU_DEP_2) | instskip(NEXT) | instid1(SALU_CYCLE_1)
	s_and_saveexec_b32 s27, s2
	s_xor_b32 s2, exec_lo, s27
; %bb.17:                               ;   in Loop: Header=BB0_4 Depth=1
	v_add_f64 v[7:8], -v[7:8], 1.0
                                        ; implicit-def: $vgpr11_vgpr12
	s_delay_alu instid0(VALU_DEP_1)
	v_fma_f64 v[19:20], -v[5:6], v[7:8], v[15:16]
                                        ; implicit-def: $vgpr5_vgpr6
                                        ; implicit-def: $vgpr7_vgpr8
; %bb.18:                               ;   in Loop: Header=BB0_4 Depth=1
	s_and_not1_saveexec_b32 s2, s2
	s_cbranch_execz .LBB0_3
; %bb.19:                               ;   in Loop: Header=BB0_4 Depth=1
	v_fma_f64 v[19:20], v[5:6], v[7:8], v[11:12]
	s_branch .LBB0_3
.LBB0_20:
	s_or_b32 exec_lo, exec_lo, s23
	s_mov_b32 s2, 0
.LBB0_21:
	s_delay_alu instid0(SALU_CYCLE_1)
	s_and_not1_b32 vcc_lo, exec_lo, s2
	s_cbranch_vccnz .LBB0_65
; %bb.22:
	v_cmp_lt_i64_e64 s2, s[6:7], 1
	s_delay_alu instid0(VALU_DEP_1)
	s_and_b32 vcc_lo, exec_lo, s2
	s_cbranch_vccnz .LBB0_65
; %bb.23:
	s_load_b32 s0, s[0:1], 0xbfc
	v_dual_mov_b32 v2, 0 :: v_dual_lshlrev_b32 v1, 3, v0
	v_cmp_gt_u64_e64 s1, 0x10000, s[6:7]
	s_delay_alu instid0(VALU_DEP_2) | instskip(NEXT) | instid1(VALU_DEP_1)
	v_add_co_u32 v29, s2, s10, v1
	v_add_co_ci_u32_e64 v30, null, s11, 0, s2
	v_add_co_u32 v31, s2, s12, v1
	s_delay_alu instid0(VALU_DEP_1) | instskip(SKIP_1) | instid1(VALU_DEP_1)
	v_add_co_ci_u32_e64 v32, null, s13, 0, s2
	v_add_co_u32 v33, s2, s14, v1
	v_add_co_ci_u32_e64 v34, null, s15, 0, s2
	v_add_co_u32 v35, s2, s16, v1
	s_waitcnt lgkmcnt(0)
	s_and_b32 s0, s0, 0xffff
	s_and_b32 s1, s1, exec_lo
	v_mad_u64_u32 v[3:4], null, s0, 24, v[1:2]
	s_cselect_b32 s9, s7, 0
	s_cselect_b32 s8, s6, 0x10000
	s_lshl_b32 s3, s0, 4
	v_add_co_ci_u32_e64 v36, null, s17, 0, s2
	v_add_co_u32 v1, s3, s3, v1
	s_delay_alu instid0(VALU_DEP_3) | instskip(NEXT) | instid1(VALU_DEP_4)
	v_add_co_u32 v37, vcc_lo, s10, v3
	v_add_co_ci_u32_e32 v38, vcc_lo, s11, v4, vcc_lo
	v_add_co_u32 v39, vcc_lo, s12, v3
	v_add_co_ci_u32_e32 v40, vcc_lo, s13, v4, vcc_lo
	;; [unrolled: 2-line block ×3, first 2 shown]
	v_add_co_u32 v43, vcc_lo, s16, v3
	v_add_co_ci_u32_e64 v2, null, 0, 0, s3
	v_add_co_ci_u32_e32 v44, vcc_lo, s17, v4, vcc_lo
	s_mul_i32 s2, s0, 3
	v_add_co_u32 v47, vcc_lo, s10, v1
	v_add_co_u32 v45, s2, s2, v0
	v_add_co_ci_u32_e32 v48, vcc_lo, s11, v2, vcc_lo
	v_add_co_u32 v49, vcc_lo, s12, v1
	v_add_co_ci_u32_e64 v46, null, 0, 0, s2
	v_add_co_u32 v53, s2, v0, s0
	v_add_co_ci_u32_e32 v50, vcc_lo, s13, v2, vcc_lo
	v_add_co_u32 v51, vcc_lo, s14, v1
	v_add_co_ci_u32_e32 v52, vcc_lo, s15, v2, vcc_lo
	v_add_co_u32 v54, vcc_lo, s16, v1
	v_lshlrev_b32_e32 v1, 3, v53
	s_lshl_b32 s1, s0, 1
	v_add_co_ci_u32_e32 v55, vcc_lo, s17, v2, vcc_lo
	v_add_co_u32 v57, s1, s1, v0
	s_delay_alu instid0(VALU_DEP_1) | instskip(SKIP_1) | instid1(VALU_DEP_1)
	v_add_co_ci_u32_e64 v58, null, 0, 0, s1
	v_add_co_u32 v59, s1, s10, v1
	v_add_co_ci_u32_e64 v60, null, s11, 0, s1
	v_add_co_u32 v61, s1, s12, v1
	s_delay_alu instid0(VALU_DEP_1) | instskip(SKIP_1) | instid1(VALU_DEP_1)
	v_add_co_ci_u32_e64 v62, null, s13, 0, s1
	v_add_co_u32 v63, s1, s14, v1
	v_add_co_ci_u32_e64 v64, null, s15, 0, s1
	v_add_co_u32 v65, s1, s16, v1
	v_add_co_ci_u32_e64 v56, null, 0, 0, s2
	v_add_co_ci_u32_e64 v66, null, s17, 0, s1
	s_lshl_b32 s12, s0, 2
	s_lshl_b32 s13, s0, 5
	s_mov_b64 s[10:11], 0
	s_branch .LBB0_25
.LBB0_24:                               ;   in Loop: Header=BB0_25 Depth=1
	s_or_b32 exec_lo, exec_lo, s0
	v_add_co_u32 v29, vcc_lo, v29, s13
	v_add_co_ci_u32_e32 v30, vcc_lo, 0, v30, vcc_lo
	v_add_co_u32 v31, vcc_lo, v31, s13
	v_add_co_ci_u32_e32 v32, vcc_lo, 0, v32, vcc_lo
	;; [unrolled: 2-line block ×13, first 2 shown]
	s_add_u32 s10, s10, s12
	v_add_co_u32 v61, vcc_lo, v61, s13
	s_addc_u32 s11, s11, 0
	v_add_co_ci_u32_e32 v62, vcc_lo, 0, v62, vcc_lo
	v_cmp_ge_i64_e64 s0, s[10:11], s[6:7]
	v_cmp_lt_u64_e64 s1, 0xffff, s[10:11]
	v_add_co_u32 v63, vcc_lo, v63, s13
	v_add_co_ci_u32_e32 v64, vcc_lo, 0, v64, vcc_lo
	v_add_co_u32 v65, vcc_lo, v65, s13
	v_add_co_ci_u32_e32 v66, vcc_lo, 0, v66, vcc_lo
	s_or_b32 s0, s0, s1
	s_delay_alu instid0(SALU_CYCLE_1)
	s_and_b32 vcc_lo, exec_lo, s0
	s_cbranch_vccnz .LBB0_65
.LBB0_25:                               ; =>This Inner Loop Header: Depth=1
	v_add_co_u32 v3, s0, v0, s10
	s_delay_alu instid0(VALU_DEP_1) | instskip(SKIP_2) | instid1(VALU_DEP_3)
	v_add_co_ci_u32_e64 v4, null, 0, s11, s0
	v_mov_b32_e32 v1, 0
	v_mov_b32_e32 v2, 0
	v_cmp_gt_u64_e32 vcc_lo, s[8:9], v[3:4]
	s_delay_alu instid0(VALU_DEP_2)
	v_dual_mov_b32 v4, v2 :: v_dual_mov_b32 v3, v1
	v_dual_mov_b32 v10, v2 :: v_dual_mov_b32 v9, v1
	s_and_saveexec_b32 s1, vcc_lo
	s_cbranch_execz .LBB0_27
; %bb.26:                               ;   in Loop: Header=BB0_25 Depth=1
	v_add_co_u32 v3, s0, v29, s4
	s_delay_alu instid0(VALU_DEP_1) | instskip(SKIP_1) | instid1(VALU_DEP_1)
	v_add_co_ci_u32_e64 v4, s0, s5, v30, s0
	v_add_co_u32 v5, s0, v31, s4
	v_add_co_ci_u32_e64 v6, s0, s5, v32, s0
	global_load_b64 v[3:4], v[3:4], off
	global_load_b64 v[9:10], v[5:6], off
.LBB0_27:                               ;   in Loop: Header=BB0_25 Depth=1
	s_or_b32 exec_lo, exec_lo, s1
	s_and_saveexec_b32 s1, vcc_lo
	s_cbranch_execz .LBB0_29
; %bb.28:                               ;   in Loop: Header=BB0_25 Depth=1
	v_add_co_u32 v1, s0, v33, s4
	s_delay_alu instid0(VALU_DEP_1)
	v_add_co_ci_u32_e64 v2, s0, s5, v34, s0
	global_load_b64 v[1:2], v[1:2], off
.LBB0_29:                               ;   in Loop: Header=BB0_25 Depth=1
	s_or_b32 exec_lo, exec_lo, s1
	v_add_co_u32 v7, s0, v53, s10
	s_delay_alu instid0(VALU_DEP_1) | instskip(SKIP_2) | instid1(VALU_DEP_3)
	v_add_co_ci_u32_e64 v8, s0, s11, v56, s0
	v_mov_b32_e32 v5, 0
	v_mov_b32_e32 v6, 0
	v_cmp_gt_u64_e64 s0, s[8:9], v[7:8]
	s_delay_alu instid0(VALU_DEP_2) | instskip(SKIP_1) | instid1(VALU_DEP_3)
	v_dual_mov_b32 v8, v6 :: v_dual_mov_b32 v7, v5
	v_dual_mov_b32 v14, v6 :: v_dual_mov_b32 v13, v5
	s_and_saveexec_b32 s2, s0
	s_cbranch_execz .LBB0_31
; %bb.30:                               ;   in Loop: Header=BB0_25 Depth=1
	v_add_co_u32 v7, s1, v59, s4
	s_delay_alu instid0(VALU_DEP_1) | instskip(SKIP_1) | instid1(VALU_DEP_1)
	v_add_co_ci_u32_e64 v8, s1, s5, v60, s1
	v_add_co_u32 v11, s1, v61, s4
	v_add_co_ci_u32_e64 v12, s1, s5, v62, s1
	global_load_b64 v[7:8], v[7:8], off
	global_load_b64 v[13:14], v[11:12], off
.LBB0_31:                               ;   in Loop: Header=BB0_25 Depth=1
	s_or_b32 exec_lo, exec_lo, s2
	s_and_saveexec_b32 s2, s0
	s_cbranch_execz .LBB0_33
; %bb.32:                               ;   in Loop: Header=BB0_25 Depth=1
	v_add_co_u32 v5, s1, v63, s4
	s_delay_alu instid0(VALU_DEP_1)
	v_add_co_ci_u32_e64 v6, s1, s5, v64, s1
	global_load_b64 v[5:6], v[5:6], off
.LBB0_33:                               ;   in Loop: Header=BB0_25 Depth=1
	s_or_b32 exec_lo, exec_lo, s2
	v_add_co_u32 v15, s1, v57, s10
	s_delay_alu instid0(VALU_DEP_1) | instskip(SKIP_2) | instid1(VALU_DEP_3)
	v_add_co_ci_u32_e64 v16, s1, s11, v58, s1
	v_mov_b32_e32 v11, 0
	v_mov_b32_e32 v12, 0
	v_cmp_gt_u64_e64 s1, s[8:9], v[15:16]
	s_delay_alu instid0(VALU_DEP_2) | instskip(SKIP_1) | instid1(VALU_DEP_3)
	v_dual_mov_b32 v16, v12 :: v_dual_mov_b32 v15, v11
	v_dual_mov_b32 v20, v12 :: v_dual_mov_b32 v19, v11
	s_and_saveexec_b32 s3, s1
	s_cbranch_execz .LBB0_35
; %bb.34:                               ;   in Loop: Header=BB0_25 Depth=1
	v_add_co_u32 v15, s2, v47, s4
	s_delay_alu instid0(VALU_DEP_1) | instskip(SKIP_1) | instid1(VALU_DEP_1)
	v_add_co_ci_u32_e64 v16, s2, s5, v48, s2
	v_add_co_u32 v17, s2, v49, s4
	v_add_co_ci_u32_e64 v18, s2, s5, v50, s2
	global_load_b64 v[15:16], v[15:16], off
	global_load_b64 v[19:20], v[17:18], off
.LBB0_35:                               ;   in Loop: Header=BB0_25 Depth=1
	s_or_b32 exec_lo, exec_lo, s3
	s_and_saveexec_b32 s3, s1
	;; [unrolled: 30-line block ×3, first 2 shown]
	s_cbranch_execz .LBB0_41
; %bb.40:                               ;   in Loop: Header=BB0_25 Depth=1
	v_add_co_u32 v17, s3, v41, s4
	s_delay_alu instid0(VALU_DEP_1)
	v_add_co_ci_u32_e64 v18, s3, s5, v42, s3
	global_load_b64 v[17:18], v[17:18], off
.LBB0_41:                               ;   in Loop: Header=BB0_25 Depth=1
	s_or_b32 exec_lo, exec_lo, s14
	s_waitcnt vmcnt(0)
	v_cmp_nlt_f64_e64 s3, |v[1:2]|, 0.5
	v_add_f64 v[27:28], v[9:10], -v[3:4]
                                        ; implicit-def: $vgpr25_vgpr26
	s_delay_alu instid0(VALU_DEP_2) | instskip(NEXT) | instid1(SALU_CYCLE_1)
	s_and_saveexec_b32 s14, s3
	s_xor_b32 s3, exec_lo, s14
; %bb.42:                               ;   in Loop: Header=BB0_25 Depth=1
	v_add_f64 v[1:2], -v[1:2], 1.0
                                        ; implicit-def: $vgpr3_vgpr4
	s_delay_alu instid0(VALU_DEP_1)
	v_fma_f64 v[25:26], -v[27:28], v[1:2], v[9:10]
                                        ; implicit-def: $vgpr27_vgpr28
                                        ; implicit-def: $vgpr1_vgpr2
; %bb.43:                               ;   in Loop: Header=BB0_25 Depth=1
	s_and_not1_saveexec_b32 s3, s3
; %bb.44:                               ;   in Loop: Header=BB0_25 Depth=1
	v_fma_f64 v[25:26], v[27:28], v[1:2], v[3:4]
; %bb.45:                               ;   in Loop: Header=BB0_25 Depth=1
	s_or_b32 exec_lo, exec_lo, s3
	v_cmp_nlt_f64_e64 s3, |v[5:6]|, 0.5
	v_add_f64 v[3:4], v[13:14], -v[7:8]
                                        ; implicit-def: $vgpr1_vgpr2
	s_delay_alu instid0(VALU_DEP_2) | instskip(NEXT) | instid1(SALU_CYCLE_1)
	s_and_saveexec_b32 s14, s3
	s_xor_b32 s3, exec_lo, s14
; %bb.46:                               ;   in Loop: Header=BB0_25 Depth=1
	v_add_f64 v[1:2], -v[5:6], 1.0
                                        ; implicit-def: $vgpr5_vgpr6
                                        ; implicit-def: $vgpr7_vgpr8
	s_delay_alu instid0(VALU_DEP_1)
	v_fma_f64 v[1:2], -v[3:4], v[1:2], v[13:14]
                                        ; implicit-def: $vgpr3_vgpr4
; %bb.47:                               ;   in Loop: Header=BB0_25 Depth=1
	s_and_not1_saveexec_b32 s3, s3
; %bb.48:                               ;   in Loop: Header=BB0_25 Depth=1
	v_fma_f64 v[1:2], v[3:4], v[5:6], v[7:8]
; %bb.49:                               ;   in Loop: Header=BB0_25 Depth=1
	s_or_b32 exec_lo, exec_lo, s3
	v_cmp_nlt_f64_e64 s3, |v[11:12]|, 0.5
	v_add_f64 v[5:6], v[19:20], -v[15:16]
                                        ; implicit-def: $vgpr3_vgpr4
	s_delay_alu instid0(VALU_DEP_2) | instskip(NEXT) | instid1(SALU_CYCLE_1)
	s_and_saveexec_b32 s14, s3
	s_xor_b32 s3, exec_lo, s14
; %bb.50:                               ;   in Loop: Header=BB0_25 Depth=1
	v_add_f64 v[3:4], -v[11:12], 1.0
                                        ; implicit-def: $vgpr11_vgpr12
                                        ; implicit-def: $vgpr15_vgpr16
	s_delay_alu instid0(VALU_DEP_1)
	v_fma_f64 v[3:4], -v[5:6], v[3:4], v[19:20]
                                        ; implicit-def: $vgpr5_vgpr6
; %bb.51:                               ;   in Loop: Header=BB0_25 Depth=1
	s_and_not1_saveexec_b32 s3, s3
; %bb.52:                               ;   in Loop: Header=BB0_25 Depth=1
	v_fma_f64 v[3:4], v[5:6], v[11:12], v[15:16]
; %bb.53:                               ;   in Loop: Header=BB0_25 Depth=1
	s_or_b32 exec_lo, exec_lo, s3
	v_cmp_nlt_f64_e64 s3, |v[17:18]|, 0.5
	v_add_f64 v[7:8], v[23:24], -v[21:22]
                                        ; implicit-def: $vgpr5_vgpr6
	s_delay_alu instid0(VALU_DEP_2) | instskip(NEXT) | instid1(SALU_CYCLE_1)
	s_and_saveexec_b32 s14, s3
	s_xor_b32 s3, exec_lo, s14
	s_cbranch_execnz .LBB0_59
; %bb.54:                               ;   in Loop: Header=BB0_25 Depth=1
	s_and_not1_saveexec_b32 s3, s3
	s_cbranch_execnz .LBB0_60
.LBB0_55:                               ;   in Loop: Header=BB0_25 Depth=1
	s_or_b32 exec_lo, exec_lo, s3
	s_and_saveexec_b32 s3, vcc_lo
	s_delay_alu instid0(SALU_CYCLE_1)
	s_xor_b32 s3, exec_lo, s3
	s_cbranch_execnz .LBB0_61
.LBB0_56:                               ;   in Loop: Header=BB0_25 Depth=1
	s_or_b32 exec_lo, exec_lo, s3
	s_and_saveexec_b32 s3, s0
	s_cbranch_execnz .LBB0_62
.LBB0_57:                               ;   in Loop: Header=BB0_25 Depth=1
	s_or_b32 exec_lo, exec_lo, s3
	s_and_saveexec_b32 s0, s1
	s_cbranch_execnz .LBB0_63
.LBB0_58:                               ;   in Loop: Header=BB0_25 Depth=1
	s_or_b32 exec_lo, exec_lo, s0
	s_and_saveexec_b32 s0, s2
	s_cbranch_execz .LBB0_24
	s_branch .LBB0_64
.LBB0_59:                               ;   in Loop: Header=BB0_25 Depth=1
	v_add_f64 v[5:6], -v[17:18], 1.0
                                        ; implicit-def: $vgpr17_vgpr18
                                        ; implicit-def: $vgpr21_vgpr22
	s_delay_alu instid0(VALU_DEP_1)
	v_fma_f64 v[5:6], -v[7:8], v[5:6], v[23:24]
                                        ; implicit-def: $vgpr7_vgpr8
	s_and_not1_saveexec_b32 s3, s3
	s_cbranch_execz .LBB0_55
.LBB0_60:                               ;   in Loop: Header=BB0_25 Depth=1
	s_delay_alu instid0(VALU_DEP_1) | instskip(SKIP_2) | instid1(SALU_CYCLE_1)
	v_fma_f64 v[5:6], v[7:8], v[17:18], v[21:22]
	s_or_b32 exec_lo, exec_lo, s3
	s_and_saveexec_b32 s3, vcc_lo
	s_xor_b32 s3, exec_lo, s3
	s_cbranch_execz .LBB0_56
.LBB0_61:                               ;   in Loop: Header=BB0_25 Depth=1
	v_add_co_u32 v7, vcc_lo, v35, s4
	v_add_co_ci_u32_e32 v8, vcc_lo, s5, v36, vcc_lo
	global_store_b64 v[7:8], v[25:26], off
	s_or_b32 exec_lo, exec_lo, s3
	s_and_saveexec_b32 s3, s0
	s_cbranch_execz .LBB0_57
.LBB0_62:                               ;   in Loop: Header=BB0_25 Depth=1
	v_add_co_u32 v7, vcc_lo, v65, s4
	v_add_co_ci_u32_e32 v8, vcc_lo, s5, v66, vcc_lo
	global_store_b64 v[7:8], v[1:2], off
	s_or_b32 exec_lo, exec_lo, s3
	s_and_saveexec_b32 s0, s1
	s_cbranch_execz .LBB0_58
.LBB0_63:                               ;   in Loop: Header=BB0_25 Depth=1
	v_add_co_u32 v1, vcc_lo, v54, s4
	v_add_co_ci_u32_e32 v2, vcc_lo, s5, v55, vcc_lo
	global_store_b64 v[1:2], v[3:4], off
	s_or_b32 exec_lo, exec_lo, s0
	s_and_saveexec_b32 s0, s2
	s_cbranch_execz .LBB0_24
.LBB0_64:                               ;   in Loop: Header=BB0_25 Depth=1
	v_add_co_u32 v1, vcc_lo, v43, s4
	v_add_co_ci_u32_e32 v2, vcc_lo, s5, v44, vcc_lo
	global_store_b64 v[1:2], v[5:6], off
	s_branch .LBB0_24
.LBB0_65:
	s_nop 0
	s_sendmsg sendmsg(MSG_DEALLOC_VGPRS)
	s_endpgm
	.section	.rodata,"a",@progbits
	.p2align	6, 0x0
	.amdhsa_kernel _ZN2at6native12_GLOBAL__N_125multi_tensor_apply_kernelINS1_18TensorListMetadataILi4EEENS1_20TernaryOpListFunctorIdLi4ELi3ELi3EEEJNS0_11LerpFunctorIdEEEEEvT_T0_DpT1_
		.amdhsa_group_segment_fixed_size 0
		.amdhsa_private_segment_fixed_size 0
		.amdhsa_kernarg_size 3312
		.amdhsa_user_sgpr_count 15
		.amdhsa_user_sgpr_dispatch_ptr 0
		.amdhsa_user_sgpr_queue_ptr 0
		.amdhsa_user_sgpr_kernarg_segment_ptr 1
		.amdhsa_user_sgpr_dispatch_id 0
		.amdhsa_user_sgpr_private_segment_size 0
		.amdhsa_wavefront_size32 1
		.amdhsa_uses_dynamic_stack 0
		.amdhsa_enable_private_segment 0
		.amdhsa_system_sgpr_workgroup_id_x 1
		.amdhsa_system_sgpr_workgroup_id_y 0
		.amdhsa_system_sgpr_workgroup_id_z 0
		.amdhsa_system_sgpr_workgroup_info 0
		.amdhsa_system_vgpr_workitem_id 0
		.amdhsa_next_free_vgpr 67
		.amdhsa_next_free_sgpr 30
		.amdhsa_reserve_vcc 1
		.amdhsa_float_round_mode_32 0
		.amdhsa_float_round_mode_16_64 0
		.amdhsa_float_denorm_mode_32 3
		.amdhsa_float_denorm_mode_16_64 3
		.amdhsa_dx10_clamp 1
		.amdhsa_ieee_mode 1
		.amdhsa_fp16_overflow 0
		.amdhsa_workgroup_processor_mode 1
		.amdhsa_memory_ordered 1
		.amdhsa_forward_progress 0
		.amdhsa_shared_vgpr_count 0
		.amdhsa_exception_fp_ieee_invalid_op 0
		.amdhsa_exception_fp_denorm_src 0
		.amdhsa_exception_fp_ieee_div_zero 0
		.amdhsa_exception_fp_ieee_overflow 0
		.amdhsa_exception_fp_ieee_underflow 0
		.amdhsa_exception_fp_ieee_inexact 0
		.amdhsa_exception_int_div_zero 0
	.end_amdhsa_kernel
	.section	.text._ZN2at6native12_GLOBAL__N_125multi_tensor_apply_kernelINS1_18TensorListMetadataILi4EEENS1_20TernaryOpListFunctorIdLi4ELi3ELi3EEEJNS0_11LerpFunctorIdEEEEEvT_T0_DpT1_,"axG",@progbits,_ZN2at6native12_GLOBAL__N_125multi_tensor_apply_kernelINS1_18TensorListMetadataILi4EEENS1_20TernaryOpListFunctorIdLi4ELi3ELi3EEEJNS0_11LerpFunctorIdEEEEEvT_T0_DpT1_,comdat
.Lfunc_end0:
	.size	_ZN2at6native12_GLOBAL__N_125multi_tensor_apply_kernelINS1_18TensorListMetadataILi4EEENS1_20TernaryOpListFunctorIdLi4ELi3ELi3EEEJNS0_11LerpFunctorIdEEEEEvT_T0_DpT1_, .Lfunc_end0-_ZN2at6native12_GLOBAL__N_125multi_tensor_apply_kernelINS1_18TensorListMetadataILi4EEENS1_20TernaryOpListFunctorIdLi4ELi3ELi3EEEJNS0_11LerpFunctorIdEEEEEvT_T0_DpT1_
                                        ; -- End function
	.section	.AMDGPU.csdata,"",@progbits
; Kernel info:
; codeLenInByte = 2648
; NumSgprs: 32
; NumVgprs: 67
; ScratchSize: 0
; MemoryBound: 1
; FloatMode: 240
; IeeeMode: 1
; LDSByteSize: 0 bytes/workgroup (compile time only)
; SGPRBlocks: 3
; VGPRBlocks: 8
; NumSGPRsForWavesPerEU: 32
; NumVGPRsForWavesPerEU: 67
; Occupancy: 16
; WaveLimiterHint : 0
; COMPUTE_PGM_RSRC2:SCRATCH_EN: 0
; COMPUTE_PGM_RSRC2:USER_SGPR: 15
; COMPUTE_PGM_RSRC2:TRAP_HANDLER: 0
; COMPUTE_PGM_RSRC2:TGID_X_EN: 1
; COMPUTE_PGM_RSRC2:TGID_Y_EN: 0
; COMPUTE_PGM_RSRC2:TGID_Z_EN: 0
; COMPUTE_PGM_RSRC2:TIDIG_COMP_CNT: 0
	.section	.text._ZN2at6native12_GLOBAL__N_125multi_tensor_apply_kernelINS1_18TensorListMetadataILi4EEENS1_20TernaryOpListFunctorIfLi4ELi3ELi3EEEJNS0_11LerpFunctorIfEEEEEvT_T0_DpT1_,"axG",@progbits,_ZN2at6native12_GLOBAL__N_125multi_tensor_apply_kernelINS1_18TensorListMetadataILi4EEENS1_20TernaryOpListFunctorIfLi4ELi3ELi3EEEJNS0_11LerpFunctorIfEEEEEvT_T0_DpT1_,comdat
	.globl	_ZN2at6native12_GLOBAL__N_125multi_tensor_apply_kernelINS1_18TensorListMetadataILi4EEENS1_20TernaryOpListFunctorIfLi4ELi3ELi3EEEJNS0_11LerpFunctorIfEEEEEvT_T0_DpT1_ ; -- Begin function _ZN2at6native12_GLOBAL__N_125multi_tensor_apply_kernelINS1_18TensorListMetadataILi4EEENS1_20TernaryOpListFunctorIfLi4ELi3ELi3EEEJNS0_11LerpFunctorIfEEEEEvT_T0_DpT1_
	.p2align	8
	.type	_ZN2at6native12_GLOBAL__N_125multi_tensor_apply_kernelINS1_18TensorListMetadataILi4EEENS1_20TernaryOpListFunctorIfLi4ELi3ELi3EEEJNS0_11LerpFunctorIfEEEEEvT_T0_DpT1_,@function
_ZN2at6native12_GLOBAL__N_125multi_tensor_apply_kernelINS1_18TensorListMetadataILi4EEENS1_20TernaryOpListFunctorIfLi4ELi3ELi3EEEJNS0_11LerpFunctorIfEEEEEvT_T0_DpT1_: ; @_ZN2at6native12_GLOBAL__N_125multi_tensor_apply_kernelINS1_18TensorListMetadataILi4EEENS1_20TernaryOpListFunctorIfLi4ELi3ELi3EEEJNS0_11LerpFunctorIfEEEEEvT_T0_DpT1_
; %bb.0:
	v_mov_b32_e32 v1, s15
	s_add_u32 s2, s0, s15
	s_mul_hi_u32 s3, s15, 3
	s_mul_i32 s15, s15, 3
	s_addc_u32 s4, s1, 0
	global_load_u8 v1, v1, s[0:1] offset:1440
	s_add_u32 s2, s2, s15
	s_addc_u32 s3, s4, s3
	s_mov_b32 s29, 0
	s_load_b32 s2, s[2:3], 0x6e0
	s_mov_b32 s9, s29
	s_mov_b32 s31, s29
	s_waitcnt vmcnt(0)
	v_readfirstlane_b32 s5, v1
	s_delay_alu instid0(VALU_DEP_1)
	s_lshl_b32 s3, s5, 3
	s_clause 0x4
	s_load_b64 s[10:11], s[0:1], s3 offset:0x0
	s_load_b64 s[12:13], s[0:1], s3 offset:0x120
	;; [unrolled: 1-line block ×5, first 2 shown]
	s_waitcnt lgkmcnt(0)
	s_ashr_i32 s3, s2, 31
	s_delay_alu instid0(SALU_CYCLE_1) | instskip(NEXT) | instid1(SALU_CYCLE_1)
	s_lshl_b64 s[6:7], s[2:3], 18
	s_add_u32 s5, s10, s6
	s_addc_u32 s18, s11, s7
	s_and_b32 s28, s5, 15
	s_add_u32 s19, s12, s6
	s_addc_u32 s20, s13, s7
	s_and_b32 s8, s19, 15
	s_delay_alu instid0(SALU_CYCLE_1)
	s_cmp_lg_u64 s[8:9], 0
	s_cselect_b32 s4, -1, 0
	s_add_u32 s21, s14, s6
	s_addc_u32 s22, s15, s7
	s_add_u32 s23, s16, s6
	s_addc_u32 s24, s17, s7
	s_or_b32 s8, s23, s21
	s_delay_alu instid0(SALU_CYCLE_1) | instskip(NEXT) | instid1(SALU_CYCLE_1)
	s_and_b32 s8, s8, 15
	s_cmp_lg_u32 s8, 0
	s_cselect_b32 s8, -1, 0
	s_lshl_b64 s[2:3], s[2:3], 16
	s_or_b32 s4, s8, s4
	s_sub_u32 s8, s26, s2
	s_subb_u32 s9, s27, s3
	s_and_b32 s30, s26, 3
	s_delay_alu instid0(SALU_CYCLE_1) | instskip(NEXT) | instid1(SALU_CYCLE_1)
	s_or_b64 s[2:3], s[28:29], s[30:31]
	s_cmp_lg_u64 s[2:3], 0
	s_cselect_b32 s2, -1, 0
	s_delay_alu instid0(SALU_CYCLE_1) | instskip(NEXT) | instid1(SALU_CYCLE_1)
	s_or_b32 s2, s4, s2
	s_and_not1_b32 vcc_lo, exec_lo, s2
	s_mov_b32 s2, -1
	s_cbranch_vccz .LBB1_5
; %bb.1:
	v_dual_mov_b32 v2, 0 :: v_dual_lshlrev_b32 v1, 2, v0
	s_mov_b32 s25, exec_lo
	s_delay_alu instid0(VALU_DEP_1)
	v_cmpx_gt_i64_e64 s[8:9], v[1:2]
	s_cbranch_execz .LBB1_4
; %bb.2:
	s_load_b32 s2, s[0:1], 0xbfc
	v_lshlrev_b32_e32 v3, 4, v0
	s_mov_b32 s26, 0
	s_waitcnt lgkmcnt(0)
	s_and_b32 s2, s2, 0xffff
	s_delay_alu instid0(SALU_CYCLE_1)
	v_add_lshl_u32 v1, v0, s2, 2
	s_lshl_b32 s27, s2, 2
	s_lshl_b32 s28, s2, 4
.LBB1_3:                                ; =>This Inner Loop Header: Depth=1
	v_add_co_u32 v4, s2, s5, v3
	s_delay_alu instid0(VALU_DEP_1) | instskip(SKIP_1) | instid1(VALU_DEP_1)
	v_add_co_ci_u32_e64 v5, null, s18, 0, s2
	v_add_co_u32 v8, s2, s19, v3
	v_add_co_ci_u32_e64 v9, null, s20, 0, s2
	v_add_co_u32 v12, s2, s21, v3
	s_delay_alu instid0(VALU_DEP_1)
	v_add_co_ci_u32_e64 v13, null, s22, 0, s2
	global_load_b128 v[4:7], v[4:5], off
	global_load_b128 v[8:11], v[8:9], off
	;; [unrolled: 1-line block ×3, first 2 shown]
	v_cmp_le_i64_e32 vcc_lo, s[8:9], v[1:2]
	v_cmp_lt_u64_e64 s2, 0xffff, v[1:2]
	v_add_co_u32 v16, s3, s23, v3
	s_delay_alu instid0(VALU_DEP_1) | instskip(SKIP_1) | instid1(VALU_DEP_4)
	v_add_co_ci_u32_e64 v17, null, s24, 0, s3
	v_add_co_u32 v1, s3, v1, s27
	s_or_b32 s29, vcc_lo, s2
	s_add_u32 s5, s5, s28
	v_add_co_ci_u32_e64 v2, s3, 0, v2, s3
	s_addc_u32 s18, s18, 0
	s_add_u32 s23, s23, s28
	s_addc_u32 s24, s24, 0
	s_add_u32 s19, s19, s28
	;; [unrolled: 2-line block ×3, first 2 shown]
	s_addc_u32 s22, s22, 0
	s_waitcnt vmcnt(0)
	v_dual_sub_f32 v18, v8, v4 :: v_dual_sub_f32 v21, 1.0, v13
	v_dual_sub_f32 v19, 1.0, v12 :: v_dual_sub_f32 v20, v9, v5
	v_dual_sub_f32 v22, v10, v6 :: v_dual_sub_f32 v25, 1.0, v15
	v_dual_sub_f32 v23, 1.0, v14 :: v_dual_sub_f32 v24, v11, v7
	s_delay_alu instid0(VALU_DEP_4) | instskip(NEXT) | instid1(VALU_DEP_4)
	v_fma_f32 v4, v18, v12, v4
	v_fma_f32 v8, -v18, v19, v8
	v_fma_f32 v5, v20, v13, v5
	v_fma_f32 v9, -v20, v21, v9
	v_cmp_lt_f32_e64 vcc_lo, |v13|, 0.5
	v_fma_f32 v6, v22, v14, v6
	v_fma_f32 v10, -v22, v23, v10
	v_cmp_lt_f32_e64 s2, |v14|, 0.5
	v_fmac_f32_e32 v7, v24, v15
	v_fma_f32 v11, -v24, v25, v11
	v_cmp_lt_f32_e64 s3, |v15|, 0.5
	v_cmp_lt_f32_e64 s4, |v12|, 0.5
	v_cndmask_b32_e32 v5, v9, v5, vcc_lo
	v_cndmask_b32_e64 v6, v10, v6, s2
	s_and_b32 s2, exec_lo, s29
	v_cndmask_b32_e64 v7, v11, v7, s3
	v_cndmask_b32_e64 v4, v8, v4, s4
	s_or_b32 s26, s2, s26
	global_store_b128 v[16:17], v[4:7], off
	s_and_not1_b32 exec_lo, exec_lo, s26
	s_cbranch_execnz .LBB1_3
.LBB1_4:
	s_or_b32 exec_lo, exec_lo, s25
	s_mov_b32 s2, 0
.LBB1_5:
	s_delay_alu instid0(SALU_CYCLE_1)
	s_and_not1_b32 vcc_lo, exec_lo, s2
	s_cbranch_vccnz .LBB1_33
; %bb.6:
	v_cmp_lt_i64_e64 s2, s[8:9], 1
	s_delay_alu instid0(VALU_DEP_1)
	s_and_b32 vcc_lo, exec_lo, s2
	s_cbranch_vccnz .LBB1_33
; %bb.7:
	s_load_b32 s0, s[0:1], 0xbfc
	v_dual_mov_b32 v18, 0 :: v_dual_lshlrev_b32 v17, 2, v0
	v_cmp_gt_u64_e64 s1, 0x10000, s[8:9]
	s_delay_alu instid0(VALU_DEP_2) | instskip(NEXT) | instid1(VALU_DEP_1)
	v_add_co_u32 v1, s2, s10, v17
	v_add_co_ci_u32_e64 v2, null, s11, 0, s2
	v_add_co_u32 v3, s2, s12, v17
	s_delay_alu instid0(VALU_DEP_1) | instskip(SKIP_1) | instid1(VALU_DEP_1)
	v_add_co_ci_u32_e64 v4, null, s13, 0, s2
	v_add_co_u32 v5, s2, s14, v17
	v_add_co_ci_u32_e64 v6, null, s15, 0, s2
	v_add_co_u32 v7, s2, s16, v17
	s_waitcnt lgkmcnt(0)
	s_and_b32 s0, s0, 0xffff
	s_and_b32 s1, s1, exec_lo
	v_mad_u64_u32 v[15:16], null, s0, 12, v[17:18]
	v_add_co_ci_u32_e64 v8, null, s17, 0, s2
	s_cselect_b32 s5, s9, 0
	s_cselect_b32 s4, s8, 0x10000
	s_mul_i32 s2, s0, 3
	s_lshl_b32 s3, s0, 3
	s_delay_alu instid0(VALU_DEP_2) | instskip(NEXT) | instid1(VALU_DEP_3)
	v_add_co_u32 v9, vcc_lo, s10, v15
	v_add_co_ci_u32_e32 v10, vcc_lo, s11, v16, vcc_lo
	v_add_co_u32 v11, vcc_lo, s12, v15
	v_add_co_u32 v26, s3, s3, v17
	v_add_co_u32 v17, s2, s2, v0
	v_add_co_ci_u32_e32 v12, vcc_lo, s13, v16, vcc_lo
	v_add_co_ci_u32_e64 v18, null, 0, 0, s2
	v_add_co_u32 v25, s2, v0, s0
	v_add_co_u32 v13, vcc_lo, s14, v15
	v_add_co_ci_u32_e32 v14, vcc_lo, s15, v16, vcc_lo
	v_add_co_u32 v15, vcc_lo, s16, v15
	v_add_co_ci_u32_e64 v27, null, 0, 0, s3
	v_lshlrev_b32_e32 v37, 2, v25
	s_lshl_b32 s1, s0, 1
	v_add_co_ci_u32_e32 v16, vcc_lo, s17, v16, vcc_lo
	v_add_co_u32 v19, vcc_lo, s10, v26
	v_add_co_u32 v29, s1, s1, v0
	v_add_co_ci_u32_e32 v20, vcc_lo, s11, v27, vcc_lo
	v_add_co_u32 v21, vcc_lo, s12, v26
	v_add_co_ci_u32_e64 v30, null, 0, 0, s1
	v_add_co_u32 v31, s1, s10, v37
	v_add_co_ci_u32_e32 v22, vcc_lo, s13, v27, vcc_lo
	v_add_co_ci_u32_e64 v32, null, s11, 0, s1
	v_add_co_u32 v33, s1, s12, v37
	v_add_co_u32 v23, vcc_lo, s14, v26
	v_add_co_ci_u32_e64 v34, null, s13, 0, s1
	v_add_co_u32 v35, s1, s14, v37
	v_add_co_ci_u32_e32 v24, vcc_lo, s15, v27, vcc_lo
	v_add_co_u32 v26, vcc_lo, s16, v26
	v_add_co_ci_u32_e64 v36, null, s15, 0, s1
	v_add_co_u32 v37, s1, s16, v37
	v_add_co_ci_u32_e32 v27, vcc_lo, s17, v27, vcc_lo
	v_add_co_ci_u32_e64 v28, null, 0, 0, s2
	v_add_co_ci_u32_e64 v38, null, s17, 0, s1
	s_lshl_b32 s12, s0, 2
	s_lshl_b32 s13, s0, 4
	s_mov_b64 s[10:11], 0
	s_branch .LBB1_9
.LBB1_8:                                ;   in Loop: Header=BB1_9 Depth=1
	s_or_b32 exec_lo, exec_lo, s0
	v_add_co_u32 v1, vcc_lo, v1, s13
	v_add_co_ci_u32_e32 v2, vcc_lo, 0, v2, vcc_lo
	v_add_co_u32 v3, vcc_lo, v3, s13
	v_add_co_ci_u32_e32 v4, vcc_lo, 0, v4, vcc_lo
	;; [unrolled: 2-line block ×13, first 2 shown]
	s_add_u32 s10, s10, s12
	v_add_co_u32 v33, vcc_lo, v33, s13
	s_addc_u32 s11, s11, 0
	v_add_co_ci_u32_e32 v34, vcc_lo, 0, v34, vcc_lo
	v_cmp_ge_i64_e64 s0, s[10:11], s[8:9]
	v_cmp_lt_u64_e64 s1, 0xffff, s[10:11]
	v_add_co_u32 v35, vcc_lo, v35, s13
	v_add_co_ci_u32_e32 v36, vcc_lo, 0, v36, vcc_lo
	v_add_co_u32 v37, vcc_lo, v37, s13
	v_add_co_ci_u32_e32 v38, vcc_lo, 0, v38, vcc_lo
	s_or_b32 s0, s0, s1
	s_delay_alu instid0(SALU_CYCLE_1)
	s_and_b32 vcc_lo, exec_lo, s0
	s_cbranch_vccnz .LBB1_33
.LBB1_9:                                ; =>This Inner Loop Header: Depth=1
	s_waitcnt vmcnt(1)
	v_add_co_u32 v39, s0, v0, s10
	s_waitcnt vmcnt(0)
	v_add_co_ci_u32_e64 v40, null, 0, s11, s0
	s_delay_alu instid0(VALU_DEP_1)
	v_cmp_gt_u64_e32 vcc_lo, s[4:5], v[39:40]
	v_dual_mov_b32 v39, 0 :: v_dual_mov_b32 v40, 0
	s_and_saveexec_b32 s1, vcc_lo
	s_cbranch_execz .LBB1_11
; %bb.10:                               ;   in Loop: Header=BB1_9 Depth=1
	v_add_co_u32 v39, s0, v1, s6
	s_delay_alu instid0(VALU_DEP_1) | instskip(SKIP_1) | instid1(VALU_DEP_1)
	v_add_co_ci_u32_e64 v40, s0, s7, v2, s0
	v_add_co_u32 v41, s0, v3, s6
	v_add_co_ci_u32_e64 v42, s0, s7, v4, s0
	global_load_b32 v39, v[39:40], off
	global_load_b32 v40, v[41:42], off
.LBB1_11:                               ;   in Loop: Header=BB1_9 Depth=1
	s_or_b32 exec_lo, exec_lo, s1
	v_dual_mov_b32 v41, 0 :: v_dual_mov_b32 v42, 0
	s_and_saveexec_b32 s1, vcc_lo
	s_cbranch_execz .LBB1_13
; %bb.12:                               ;   in Loop: Header=BB1_9 Depth=1
	v_add_co_u32 v42, s0, v5, s6
	s_delay_alu instid0(VALU_DEP_1)
	v_add_co_ci_u32_e64 v43, s0, s7, v6, s0
	global_load_b32 v42, v[42:43], off
.LBB1_13:                               ;   in Loop: Header=BB1_9 Depth=1
	s_or_b32 exec_lo, exec_lo, s1
	v_add_co_u32 v43, s0, v25, s10
	s_delay_alu instid0(VALU_DEP_1) | instskip(NEXT) | instid1(VALU_DEP_1)
	v_add_co_ci_u32_e64 v44, s0, s11, v28, s0
	v_cmp_gt_u64_e64 s0, s[4:5], v[43:44]
	v_mov_b32_e32 v43, 0
	s_delay_alu instid0(VALU_DEP_2)
	s_and_saveexec_b32 s2, s0
	s_cbranch_execz .LBB1_15
; %bb.14:                               ;   in Loop: Header=BB1_9 Depth=1
	v_add_co_u32 v43, s1, v31, s6
	s_delay_alu instid0(VALU_DEP_1) | instskip(SKIP_1) | instid1(VALU_DEP_1)
	v_add_co_ci_u32_e64 v44, s1, s7, v32, s1
	v_add_co_u32 v45, s1, v33, s6
	v_add_co_ci_u32_e64 v46, s1, s7, v34, s1
	global_load_b32 v41, v[43:44], off
	global_load_b32 v43, v[45:46], off
.LBB1_15:                               ;   in Loop: Header=BB1_9 Depth=1
	s_or_b32 exec_lo, exec_lo, s2
	v_dual_mov_b32 v44, 0 :: v_dual_mov_b32 v45, 0
	s_and_saveexec_b32 s2, s0
	s_cbranch_execz .LBB1_17
; %bb.16:                               ;   in Loop: Header=BB1_9 Depth=1
	v_add_co_u32 v45, s1, v35, s6
	s_delay_alu instid0(VALU_DEP_1)
	v_add_co_ci_u32_e64 v46, s1, s7, v36, s1
	global_load_b32 v45, v[45:46], off
.LBB1_17:                               ;   in Loop: Header=BB1_9 Depth=1
	s_or_b32 exec_lo, exec_lo, s2
	v_add_co_u32 v46, s1, v29, s10
	s_delay_alu instid0(VALU_DEP_1) | instskip(NEXT) | instid1(VALU_DEP_1)
	v_add_co_ci_u32_e64 v47, s1, s11, v30, s1
	v_cmp_gt_u64_e64 s1, s[4:5], v[46:47]
	v_mov_b32_e32 v46, 0
	s_delay_alu instid0(VALU_DEP_2)
	s_and_saveexec_b32 s3, s1
	s_cbranch_execz .LBB1_19
; %bb.18:                               ;   in Loop: Header=BB1_9 Depth=1
	v_add_co_u32 v46, s2, v19, s6
	s_delay_alu instid0(VALU_DEP_1) | instskip(SKIP_1) | instid1(VALU_DEP_1)
	v_add_co_ci_u32_e64 v47, s2, s7, v20, s2
	v_add_co_u32 v48, s2, v21, s6
	v_add_co_ci_u32_e64 v49, s2, s7, v22, s2
	global_load_b32 v44, v[46:47], off
	global_load_b32 v46, v[48:49], off
.LBB1_19:                               ;   in Loop: Header=BB1_9 Depth=1
	s_or_b32 exec_lo, exec_lo, s3
	v_dual_mov_b32 v47, 0 :: v_dual_mov_b32 v48, 0
	s_and_saveexec_b32 s3, s1
	s_cbranch_execz .LBB1_21
; %bb.20:                               ;   in Loop: Header=BB1_9 Depth=1
	v_add_co_u32 v48, s2, v23, s6
	s_delay_alu instid0(VALU_DEP_1)
	v_add_co_ci_u32_e64 v49, s2, s7, v24, s2
	global_load_b32 v48, v[48:49], off
.LBB1_21:                               ;   in Loop: Header=BB1_9 Depth=1
	s_or_b32 exec_lo, exec_lo, s3
	v_add_co_u32 v49, s2, v17, s10
	s_delay_alu instid0(VALU_DEP_1) | instskip(NEXT) | instid1(VALU_DEP_1)
	v_add_co_ci_u32_e64 v50, s2, s11, v18, s2
	v_cmp_gt_u64_e64 s2, s[4:5], v[49:50]
	v_mov_b32_e32 v49, 0
	s_delay_alu instid0(VALU_DEP_2)
	s_and_saveexec_b32 s14, s2
	s_cbranch_execnz .LBB1_27
; %bb.22:                               ;   in Loop: Header=BB1_9 Depth=1
	s_or_b32 exec_lo, exec_lo, s14
	v_mov_b32_e32 v50, 0
	s_and_saveexec_b32 s14, s2
	s_cbranch_execnz .LBB1_28
.LBB1_23:                               ;   in Loop: Header=BB1_9 Depth=1
	s_or_b32 exec_lo, exec_lo, s14
	s_and_saveexec_b32 s3, vcc_lo
	s_cbranch_execnz .LBB1_29
.LBB1_24:                               ;   in Loop: Header=BB1_9 Depth=1
	s_or_b32 exec_lo, exec_lo, s3
	s_and_saveexec_b32 s3, s0
	s_cbranch_execnz .LBB1_30
.LBB1_25:                               ;   in Loop: Header=BB1_9 Depth=1
	s_or_b32 exec_lo, exec_lo, s3
	s_and_saveexec_b32 s0, s1
	s_cbranch_execnz .LBB1_31
.LBB1_26:                               ;   in Loop: Header=BB1_9 Depth=1
	s_or_b32 exec_lo, exec_lo, s0
	s_and_saveexec_b32 s0, s2
	s_cbranch_execz .LBB1_8
	s_branch .LBB1_32
.LBB1_27:                               ;   in Loop: Header=BB1_9 Depth=1
	v_add_co_u32 v49, s3, v9, s6
	s_delay_alu instid0(VALU_DEP_1) | instskip(SKIP_1) | instid1(VALU_DEP_1)
	v_add_co_ci_u32_e64 v50, s3, s7, v10, s3
	v_add_co_u32 v51, s3, v11, s6
	v_add_co_ci_u32_e64 v52, s3, s7, v12, s3
	global_load_b32 v47, v[49:50], off
	global_load_b32 v49, v[51:52], off
	s_or_b32 exec_lo, exec_lo, s14
	v_mov_b32_e32 v50, 0
	s_and_saveexec_b32 s14, s2
	s_cbranch_execz .LBB1_23
.LBB1_28:                               ;   in Loop: Header=BB1_9 Depth=1
	v_add_co_u32 v50, s3, v13, s6
	s_delay_alu instid0(VALU_DEP_1)
	v_add_co_ci_u32_e64 v51, s3, s7, v14, s3
	global_load_b32 v50, v[50:51], off
	s_or_b32 exec_lo, exec_lo, s14
	s_and_saveexec_b32 s3, vcc_lo
	s_cbranch_execz .LBB1_24
.LBB1_29:                               ;   in Loop: Header=BB1_9 Depth=1
	s_waitcnt vmcnt(0)
	v_dual_sub_f32 v51, v40, v39 :: v_dual_sub_f32 v52, 1.0, v42
	s_delay_alu instid0(VALU_DEP_1) | instskip(NEXT) | instid1(VALU_DEP_2)
	v_fmac_f32_e32 v39, v51, v42
	v_fma_f32 v40, -v51, v52, v40
	v_add_co_u32 v51, vcc_lo, v7, s6
	v_add_co_ci_u32_e32 v52, vcc_lo, s7, v8, vcc_lo
	v_cmp_lt_f32_e64 vcc_lo, |v42|, 0.5
	s_delay_alu instid0(VALU_DEP_4)
	v_cndmask_b32_e32 v39, v40, v39, vcc_lo
	global_store_b32 v[51:52], v39, off
	s_or_b32 exec_lo, exec_lo, s3
	s_and_saveexec_b32 s3, s0
	s_cbranch_execz .LBB1_25
.LBB1_30:                               ;   in Loop: Header=BB1_9 Depth=1
	s_waitcnt vmcnt(0)
	v_sub_f32_e32 v39, v43, v41
	v_sub_f32_e32 v40, 1.0, v45
	v_cmp_lt_f32_e64 vcc_lo, |v45|, 0.5
	s_delay_alu instid0(VALU_DEP_3) | instskip(NEXT) | instid1(VALU_DEP_3)
	v_fmac_f32_e32 v41, v39, v45
	v_fma_f32 v39, -v39, v40, v43
	s_delay_alu instid0(VALU_DEP_1)
	v_cndmask_b32_e32 v41, v39, v41, vcc_lo
	v_add_co_u32 v39, vcc_lo, v37, s6
	v_add_co_ci_u32_e32 v40, vcc_lo, s7, v38, vcc_lo
	global_store_b32 v[39:40], v41, off
	s_or_b32 exec_lo, exec_lo, s3
	s_and_saveexec_b32 s0, s1
	s_cbranch_execz .LBB1_26
.LBB1_31:                               ;   in Loop: Header=BB1_9 Depth=1
	s_waitcnt vmcnt(0)
	v_sub_f32_e32 v39, v46, v44
	v_sub_f32_e32 v40, 1.0, v48
	v_cmp_lt_f32_e64 vcc_lo, |v48|, 0.5
	s_delay_alu instid0(VALU_DEP_3) | instskip(NEXT) | instid1(VALU_DEP_3)
	v_fmac_f32_e32 v44, v39, v48
	v_fma_f32 v39, -v39, v40, v46
	s_delay_alu instid0(VALU_DEP_1)
	v_cndmask_b32_e32 v41, v39, v44, vcc_lo
	v_add_co_u32 v39, vcc_lo, v26, s6
	v_add_co_ci_u32_e32 v40, vcc_lo, s7, v27, vcc_lo
	global_store_b32 v[39:40], v41, off
	s_or_b32 exec_lo, exec_lo, s0
	s_and_saveexec_b32 s0, s2
	s_cbranch_execz .LBB1_8
.LBB1_32:                               ;   in Loop: Header=BB1_9 Depth=1
	s_waitcnt vmcnt(0)
	v_dual_sub_f32 v39, v49, v47 :: v_dual_sub_f32 v40, 1.0, v50
	v_cmp_lt_f32_e64 vcc_lo, |v50|, 0.5
	s_delay_alu instid0(VALU_DEP_2) | instskip(NEXT) | instid1(VALU_DEP_3)
	v_fmac_f32_e32 v47, v39, v50
	v_fma_f32 v39, -v39, v40, v49
	s_delay_alu instid0(VALU_DEP_1)
	v_cndmask_b32_e32 v41, v39, v47, vcc_lo
	v_add_co_u32 v39, vcc_lo, v15, s6
	v_add_co_ci_u32_e32 v40, vcc_lo, s7, v16, vcc_lo
	global_store_b32 v[39:40], v41, off
	s_branch .LBB1_8
.LBB1_33:
	s_nop 0
	s_sendmsg sendmsg(MSG_DEALLOC_VGPRS)
	s_endpgm
	.section	.rodata,"a",@progbits
	.p2align	6, 0x0
	.amdhsa_kernel _ZN2at6native12_GLOBAL__N_125multi_tensor_apply_kernelINS1_18TensorListMetadataILi4EEENS1_20TernaryOpListFunctorIfLi4ELi3ELi3EEEJNS0_11LerpFunctorIfEEEEEvT_T0_DpT1_
		.amdhsa_group_segment_fixed_size 0
		.amdhsa_private_segment_fixed_size 0
		.amdhsa_kernarg_size 3312
		.amdhsa_user_sgpr_count 15
		.amdhsa_user_sgpr_dispatch_ptr 0
		.amdhsa_user_sgpr_queue_ptr 0
		.amdhsa_user_sgpr_kernarg_segment_ptr 1
		.amdhsa_user_sgpr_dispatch_id 0
		.amdhsa_user_sgpr_private_segment_size 0
		.amdhsa_wavefront_size32 1
		.amdhsa_uses_dynamic_stack 0
		.amdhsa_enable_private_segment 0
		.amdhsa_system_sgpr_workgroup_id_x 1
		.amdhsa_system_sgpr_workgroup_id_y 0
		.amdhsa_system_sgpr_workgroup_id_z 0
		.amdhsa_system_sgpr_workgroup_info 0
		.amdhsa_system_vgpr_workitem_id 0
		.amdhsa_next_free_vgpr 53
		.amdhsa_next_free_sgpr 32
		.amdhsa_reserve_vcc 1
		.amdhsa_float_round_mode_32 0
		.amdhsa_float_round_mode_16_64 0
		.amdhsa_float_denorm_mode_32 3
		.amdhsa_float_denorm_mode_16_64 3
		.amdhsa_dx10_clamp 1
		.amdhsa_ieee_mode 1
		.amdhsa_fp16_overflow 0
		.amdhsa_workgroup_processor_mode 1
		.amdhsa_memory_ordered 1
		.amdhsa_forward_progress 0
		.amdhsa_shared_vgpr_count 0
		.amdhsa_exception_fp_ieee_invalid_op 0
		.amdhsa_exception_fp_denorm_src 0
		.amdhsa_exception_fp_ieee_div_zero 0
		.amdhsa_exception_fp_ieee_overflow 0
		.amdhsa_exception_fp_ieee_underflow 0
		.amdhsa_exception_fp_ieee_inexact 0
		.amdhsa_exception_int_div_zero 0
	.end_amdhsa_kernel
	.section	.text._ZN2at6native12_GLOBAL__N_125multi_tensor_apply_kernelINS1_18TensorListMetadataILi4EEENS1_20TernaryOpListFunctorIfLi4ELi3ELi3EEEJNS0_11LerpFunctorIfEEEEEvT_T0_DpT1_,"axG",@progbits,_ZN2at6native12_GLOBAL__N_125multi_tensor_apply_kernelINS1_18TensorListMetadataILi4EEENS1_20TernaryOpListFunctorIfLi4ELi3ELi3EEEJNS0_11LerpFunctorIfEEEEEvT_T0_DpT1_,comdat
.Lfunc_end1:
	.size	_ZN2at6native12_GLOBAL__N_125multi_tensor_apply_kernelINS1_18TensorListMetadataILi4EEENS1_20TernaryOpListFunctorIfLi4ELi3ELi3EEEJNS0_11LerpFunctorIfEEEEEvT_T0_DpT1_, .Lfunc_end1-_ZN2at6native12_GLOBAL__N_125multi_tensor_apply_kernelINS1_18TensorListMetadataILi4EEENS1_20TernaryOpListFunctorIfLi4ELi3ELi3EEEJNS0_11LerpFunctorIfEEEEEvT_T0_DpT1_
                                        ; -- End function
	.section	.AMDGPU.csdata,"",@progbits
; Kernel info:
; codeLenInByte = 2340
; NumSgprs: 34
; NumVgprs: 53
; ScratchSize: 0
; MemoryBound: 0
; FloatMode: 240
; IeeeMode: 1
; LDSByteSize: 0 bytes/workgroup (compile time only)
; SGPRBlocks: 4
; VGPRBlocks: 6
; NumSGPRsForWavesPerEU: 34
; NumVGPRsForWavesPerEU: 53
; Occupancy: 16
; WaveLimiterHint : 0
; COMPUTE_PGM_RSRC2:SCRATCH_EN: 0
; COMPUTE_PGM_RSRC2:USER_SGPR: 15
; COMPUTE_PGM_RSRC2:TRAP_HANDLER: 0
; COMPUTE_PGM_RSRC2:TGID_X_EN: 1
; COMPUTE_PGM_RSRC2:TGID_Y_EN: 0
; COMPUTE_PGM_RSRC2:TGID_Z_EN: 0
; COMPUTE_PGM_RSRC2:TIDIG_COMP_CNT: 0
	.section	.text._ZN2at6native12_GLOBAL__N_125multi_tensor_apply_kernelINS1_18TensorListMetadataILi4EEENS1_20TernaryOpListFunctorIN3c107complexIdEELi4ELi3ELi3EEEJNS0_11LerpFunctorIS8_EEEEEvT_T0_DpT1_,"axG",@progbits,_ZN2at6native12_GLOBAL__N_125multi_tensor_apply_kernelINS1_18TensorListMetadataILi4EEENS1_20TernaryOpListFunctorIN3c107complexIdEELi4ELi3ELi3EEEJNS0_11LerpFunctorIS8_EEEEEvT_T0_DpT1_,comdat
	.globl	_ZN2at6native12_GLOBAL__N_125multi_tensor_apply_kernelINS1_18TensorListMetadataILi4EEENS1_20TernaryOpListFunctorIN3c107complexIdEELi4ELi3ELi3EEEJNS0_11LerpFunctorIS8_EEEEEvT_T0_DpT1_ ; -- Begin function _ZN2at6native12_GLOBAL__N_125multi_tensor_apply_kernelINS1_18TensorListMetadataILi4EEENS1_20TernaryOpListFunctorIN3c107complexIdEELi4ELi3ELi3EEEJNS0_11LerpFunctorIS8_EEEEEvT_T0_DpT1_
	.p2align	8
	.type	_ZN2at6native12_GLOBAL__N_125multi_tensor_apply_kernelINS1_18TensorListMetadataILi4EEENS1_20TernaryOpListFunctorIN3c107complexIdEELi4ELi3ELi3EEEJNS0_11LerpFunctorIS8_EEEEEvT_T0_DpT1_,@function
_ZN2at6native12_GLOBAL__N_125multi_tensor_apply_kernelINS1_18TensorListMetadataILi4EEENS1_20TernaryOpListFunctorIN3c107complexIdEELi4ELi3ELi3EEEJNS0_11LerpFunctorIS8_EEEEEvT_T0_DpT1_: ; @_ZN2at6native12_GLOBAL__N_125multi_tensor_apply_kernelINS1_18TensorListMetadataILi4EEENS1_20TernaryOpListFunctorIN3c107complexIdEELi4ELi3ELi3EEEJNS0_11LerpFunctorIS8_EEEEEvT_T0_DpT1_
; %bb.0:
	v_mov_b32_e32 v1, s15
	s_add_u32 s2, s0, s15
	s_mul_hi_u32 s3, s15, 3
	s_mul_i32 s15, s15, 3
	s_addc_u32 s4, s1, 0
	global_load_u8 v1, v1, s[0:1] offset:1440
	s_add_u32 s2, s2, s15
	s_addc_u32 s3, s4, s3
	s_mov_b32 s27, 0
	s_load_b32 s6, s[2:3], 0x6e0
	s_mov_b32 s29, s27
	s_waitcnt lgkmcnt(0)
	s_ashr_i32 s7, s6, 31
	s_waitcnt vmcnt(0)
	v_readfirstlane_b32 s5, v1
	s_delay_alu instid0(VALU_DEP_1)
	s_lshl_b32 s2, s5, 3
	s_lshl_b64 s[4:5], s[6:7], 20
	s_clause 0x4
	s_load_b64 s[12:13], s[0:1], s2 offset:0x0
	s_load_b64 s[14:15], s[0:1], s2 offset:0x120
	;; [unrolled: 1-line block ×5, first 2 shown]
	s_waitcnt lgkmcnt(0)
	s_add_u32 s3, s12, s4
	s_addc_u32 s8, s13, s5
	s_add_u32 s9, s14, s4
	s_addc_u32 s10, s15, s5
	s_and_b32 s26, s9, 63
	s_add_u32 s11, s16, s4
	s_addc_u32 s20, s17, s5
	s_add_u32 s21, s18, s4
	s_addc_u32 s22, s19, s5
	s_or_b32 s2, s21, s11
	s_delay_alu instid0(SALU_CYCLE_1) | instskip(NEXT) | instid1(SALU_CYCLE_1)
	s_and_b32 s2, s2, 63
	s_cmp_lg_u32 s2, 0
	s_cselect_b32 s2, -1, 0
	s_lshl_b64 s[6:7], s[6:7], 16
	s_and_b32 s28, s3, 63
	s_cmp_lg_u64 s[26:27], 0
	s_cselect_b32 s23, -1, 0
	s_delay_alu instid0(SALU_CYCLE_1) | instskip(SKIP_3) | instid1(SALU_CYCLE_1)
	s_or_b32 s2, s2, s23
	s_sub_u32 s6, s24, s6
	s_subb_u32 s7, s25, s7
	s_and_b32 s26, s24, 3
	s_or_b64 s[24:25], s[28:29], s[26:27]
	s_delay_alu instid0(SALU_CYCLE_1) | instskip(SKIP_1) | instid1(SALU_CYCLE_1)
	s_cmp_lg_u64 s[24:25], 0
	s_cselect_b32 s23, -1, 0
	s_or_b32 s2, s2, s23
	s_delay_alu instid0(SALU_CYCLE_1)
	s_and_not1_b32 vcc_lo, exec_lo, s2
	s_mov_b32 s2, -1
	s_cbranch_vccz .LBB2_21
; %bb.1:
	v_dual_mov_b32 v54, 0 :: v_dual_lshlrev_b32 v53, 2, v0
	s_mov_b32 s23, exec_lo
	s_delay_alu instid0(VALU_DEP_1)
	v_cmpx_gt_i64_e64 s[6:7], v[53:54]
	s_cbranch_execz .LBB2_20
; %bb.2:
	s_load_b32 s2, s[0:1], 0xbfc
	v_lshlrev_b32_e32 v59, 6, v0
	s_mov_b32 s24, 0
	s_waitcnt lgkmcnt(0)
	s_and_b32 s2, s2, 0xffff
	s_delay_alu instid0(SALU_CYCLE_1)
	v_add_lshl_u32 v53, v0, s2, 2
	s_lshl_b32 s25, s2, 2
	s_lshl_b32 s26, s2, 6
	s_branch .LBB2_4
.LBB2_3:                                ;   in Loop: Header=BB2_4 Depth=1
	s_or_b32 exec_lo, exec_lo, s2
	v_cmp_le_i64_e32 vcc_lo, s[6:7], v[53:54]
	v_cmp_lt_u64_e64 s2, 0xffff, v[53:54]
	v_add_co_u32 v5, s27, s21, v59
	s_delay_alu instid0(VALU_DEP_1)
	v_add_co_ci_u32_e64 v6, null, s22, 0, s27
	s_clause 0x1
	global_store_b128 v[5:6], v[1:4], off
	global_store_b128 v[5:6], v[17:20], off offset:16
	s_or_b32 s2, vcc_lo, s2
	s_add_u32 s3, s3, s26
	s_addc_u32 s8, s8, 0
	s_add_u32 s21, s21, s26
	s_addc_u32 s22, s22, 0
	s_add_u32 s9, s9, s26
	v_add_co_u32 v53, vcc_lo, v53, s25
	s_addc_u32 s10, s10, 0
	s_add_u32 s11, s11, s26
	v_add_co_ci_u32_e32 v54, vcc_lo, 0, v54, vcc_lo
	s_addc_u32 s20, s20, 0
	s_and_b32 s2, exec_lo, s2
	s_clause 0x1
	global_store_b128 v[5:6], v[33:36], off offset:32
	global_store_b128 v[5:6], v[21:24], off offset:48
	s_or_b32 s24, s2, s24
	s_delay_alu instid0(SALU_CYCLE_1)
	s_and_not1_b32 exec_lo, exec_lo, s24
	s_cbranch_execz .LBB2_20
.LBB2_4:                                ; =>This Inner Loop Header: Depth=1
	v_add_co_u32 v1, s2, s11, v59
	s_delay_alu instid0(VALU_DEP_1) | instskip(SKIP_1) | instid1(VALU_DEP_1)
	v_add_co_ci_u32_e64 v2, null, s20, 0, s2
	v_add_co_u32 v3, s2, s3, v59
	v_add_co_ci_u32_e64 v4, null, s8, 0, s2
	global_load_b128 v[17:20], v[1:2], off
	v_add_co_u32 v5, s2, s9, v59
	s_delay_alu instid0(VALU_DEP_1)
	v_add_co_ci_u32_e64 v6, null, s10, 0, s2
	global_load_b128 v[45:48], v[3:4], off
	global_load_b128 v[49:52], v[5:6], off
	global_load_b128 v[33:36], v[1:2], off offset:16
	global_load_b128 v[37:40], v[3:4], off offset:16
	;; [unrolled: 1-line block ×3, first 2 shown]
	s_clause 0x1
	global_load_b128 v[9:12], v[3:4], off offset:48
	global_load_b128 v[25:28], v[3:4], off offset:32
	s_clause 0x1
	global_load_b128 v[13:16], v[5:6], off offset:48
	global_load_b128 v[29:32], v[5:6], off offset:32
	;; [unrolled: 3-line block ×3, first 2 shown]
	s_mov_b32 s2, exec_lo
                                        ; implicit-def: $vgpr3_vgpr4
	s_waitcnt vmcnt(9)
	v_add_f64 v[57:58], v[49:50], -v[45:46]
	v_add_f64 v[55:56], v[51:52], -v[47:48]
	v_mul_f64 v[1:2], v[19:20], v[19:20]
	s_delay_alu instid0(VALU_DEP_1) | instskip(NEXT) | instid1(VALU_DEP_1)
	v_fma_f64 v[1:2], v[17:18], v[17:18], v[1:2]
	v_cmpx_ngt_f64_e32 0x3fd00000, v[1:2]
	s_xor_b32 s2, exec_lo, s2
; %bb.5:                                ;   in Loop: Header=BB2_4 Depth=1
	v_add_f64 v[1:2], -v[19:20], 0
	v_add_f64 v[3:4], -v[17:18], 1.0
                                        ; implicit-def: $vgpr19_vgpr20
                                        ; implicit-def: $vgpr45_vgpr46
	s_delay_alu instid0(VALU_DEP_2) | instskip(SKIP_1) | instid1(VALU_DEP_2)
	v_mul_f64 v[17:18], v[55:56], v[1:2]
	v_mul_f64 v[1:2], v[57:58], v[1:2]
	v_fma_f64 v[17:18], v[57:58], v[3:4], -v[17:18]
	s_delay_alu instid0(VALU_DEP_2) | instskip(NEXT) | instid1(VALU_DEP_2)
	v_fma_f64 v[3:4], v[55:56], v[3:4], v[1:2]
                                        ; implicit-def: $vgpr55_vgpr56
                                        ; implicit-def: $vgpr57_vgpr58
	v_add_f64 v[1:2], v[49:50], -v[17:18]
	s_delay_alu instid0(VALU_DEP_2)
	v_add_f64 v[3:4], v[51:52], -v[3:4]
; %bb.6:                                ;   in Loop: Header=BB2_4 Depth=1
	s_and_not1_saveexec_b32 s2, s2
; %bb.7:                                ;   in Loop: Header=BB2_4 Depth=1
	v_mul_f64 v[1:2], v[55:56], v[19:20]
	v_mul_f64 v[3:4], v[57:58], v[19:20]
	s_delay_alu instid0(VALU_DEP_2) | instskip(NEXT) | instid1(VALU_DEP_2)
	v_fma_f64 v[1:2], v[57:58], v[17:18], -v[1:2]
	v_fma_f64 v[3:4], v[55:56], v[17:18], v[3:4]
	s_delay_alu instid0(VALU_DEP_2) | instskip(NEXT) | instid1(VALU_DEP_2)
	v_add_f64 v[1:2], v[45:46], v[1:2]
	v_add_f64 v[3:4], v[47:48], v[3:4]
; %bb.8:                                ;   in Loop: Header=BB2_4 Depth=1
	s_or_b32 exec_lo, exec_lo, s2
	s_waitcnt vmcnt(8)
	v_mul_f64 v[17:18], v[35:36], v[35:36]
	s_waitcnt vmcnt(6)
	v_add_f64 v[47:48], v[41:42], -v[37:38]
	v_add_f64 v[45:46], v[43:44], -v[39:40]
	s_mov_b32 s2, exec_lo
                                        ; implicit-def: $vgpr19_vgpr20
	s_delay_alu instid0(VALU_DEP_3) | instskip(NEXT) | instid1(VALU_DEP_1)
	v_fma_f64 v[17:18], v[33:34], v[33:34], v[17:18]
	v_cmpx_ngt_f64_e32 0x3fd00000, v[17:18]
	s_xor_b32 s2, exec_lo, s2
; %bb.9:                                ;   in Loop: Header=BB2_4 Depth=1
	v_add_f64 v[17:18], -v[35:36], 0
	v_add_f64 v[19:20], -v[33:34], 1.0
                                        ; implicit-def: $vgpr35_vgpr36
                                        ; implicit-def: $vgpr37_vgpr38
	s_delay_alu instid0(VALU_DEP_2) | instskip(SKIP_1) | instid1(VALU_DEP_2)
	v_mul_f64 v[33:34], v[45:46], v[17:18]
	v_mul_f64 v[17:18], v[47:48], v[17:18]
	v_fma_f64 v[33:34], v[47:48], v[19:20], -v[33:34]
	s_delay_alu instid0(VALU_DEP_2) | instskip(NEXT) | instid1(VALU_DEP_2)
	v_fma_f64 v[19:20], v[45:46], v[19:20], v[17:18]
                                        ; implicit-def: $vgpr45_vgpr46
                                        ; implicit-def: $vgpr47_vgpr48
	v_add_f64 v[17:18], v[41:42], -v[33:34]
	s_delay_alu instid0(VALU_DEP_2)
	v_add_f64 v[19:20], v[43:44], -v[19:20]
; %bb.10:                               ;   in Loop: Header=BB2_4 Depth=1
	s_and_not1_saveexec_b32 s2, s2
; %bb.11:                               ;   in Loop: Header=BB2_4 Depth=1
	v_mul_f64 v[17:18], v[45:46], v[35:36]
	v_mul_f64 v[19:20], v[47:48], v[35:36]
	s_delay_alu instid0(VALU_DEP_2) | instskip(NEXT) | instid1(VALU_DEP_2)
	v_fma_f64 v[17:18], v[47:48], v[33:34], -v[17:18]
	v_fma_f64 v[19:20], v[45:46], v[33:34], v[19:20]
	s_delay_alu instid0(VALU_DEP_2) | instskip(NEXT) | instid1(VALU_DEP_2)
	v_add_f64 v[17:18], v[37:38], v[17:18]
	v_add_f64 v[19:20], v[39:40], v[19:20]
; %bb.12:                               ;   in Loop: Header=BB2_4 Depth=1
	s_or_b32 exec_lo, exec_lo, s2
	s_waitcnt vmcnt(0)
	v_mul_f64 v[33:34], v[23:24], v[23:24]
	v_add_f64 v[39:40], v[29:30], -v[25:26]
	v_add_f64 v[37:38], v[31:32], -v[27:28]
	s_mov_b32 s2, exec_lo
                                        ; implicit-def: $vgpr35_vgpr36
	s_delay_alu instid0(VALU_DEP_3) | instskip(NEXT) | instid1(VALU_DEP_1)
	v_fma_f64 v[33:34], v[21:22], v[21:22], v[33:34]
	v_cmpx_ngt_f64_e32 0x3fd00000, v[33:34]
	s_xor_b32 s2, exec_lo, s2
; %bb.13:                               ;   in Loop: Header=BB2_4 Depth=1
	v_add_f64 v[23:24], -v[23:24], 0
	v_add_f64 v[21:22], -v[21:22], 1.0
	s_delay_alu instid0(VALU_DEP_2) | instskip(SKIP_1) | instid1(VALU_DEP_2)
	v_mul_f64 v[25:26], v[37:38], v[23:24]
	v_mul_f64 v[23:24], v[39:40], v[23:24]
	v_fma_f64 v[25:26], v[39:40], v[21:22], -v[25:26]
	s_delay_alu instid0(VALU_DEP_2) | instskip(NEXT) | instid1(VALU_DEP_2)
	v_fma_f64 v[21:22], v[37:38], v[21:22], v[23:24]
                                        ; implicit-def: $vgpr37_vgpr38
                                        ; implicit-def: $vgpr23_vgpr24
                                        ; implicit-def: $vgpr39_vgpr40
	v_add_f64 v[33:34], v[29:30], -v[25:26]
	s_delay_alu instid0(VALU_DEP_2)
	v_add_f64 v[35:36], v[31:32], -v[21:22]
                                        ; implicit-def: $vgpr25_vgpr26
; %bb.14:                               ;   in Loop: Header=BB2_4 Depth=1
	s_and_not1_saveexec_b32 s2, s2
; %bb.15:                               ;   in Loop: Header=BB2_4 Depth=1
	v_mul_f64 v[29:30], v[37:38], v[23:24]
	v_mul_f64 v[23:24], v[39:40], v[23:24]
	s_delay_alu instid0(VALU_DEP_2) | instskip(NEXT) | instid1(VALU_DEP_2)
	v_fma_f64 v[29:30], v[39:40], v[21:22], -v[29:30]
	v_fma_f64 v[21:22], v[37:38], v[21:22], v[23:24]
	s_delay_alu instid0(VALU_DEP_2) | instskip(NEXT) | instid1(VALU_DEP_2)
	v_add_f64 v[33:34], v[25:26], v[29:30]
	v_add_f64 v[35:36], v[27:28], v[21:22]
; %bb.16:                               ;   in Loop: Header=BB2_4 Depth=1
	s_or_b32 exec_lo, exec_lo, s2
	v_mul_f64 v[21:22], v[7:8], v[7:8]
	v_add_f64 v[27:28], v[13:14], -v[9:10]
	v_add_f64 v[25:26], v[15:16], -v[11:12]
	s_mov_b32 s2, exec_lo
                                        ; implicit-def: $vgpr23_vgpr24
	s_delay_alu instid0(VALU_DEP_3) | instskip(NEXT) | instid1(VALU_DEP_1)
	v_fma_f64 v[21:22], v[5:6], v[5:6], v[21:22]
	v_cmpx_ngt_f64_e32 0x3fd00000, v[21:22]
	s_xor_b32 s2, exec_lo, s2
; %bb.17:                               ;   in Loop: Header=BB2_4 Depth=1
	v_add_f64 v[7:8], -v[7:8], 0
	v_add_f64 v[5:6], -v[5:6], 1.0
	s_delay_alu instid0(VALU_DEP_2) | instskip(SKIP_1) | instid1(VALU_DEP_2)
	v_mul_f64 v[9:10], v[25:26], v[7:8]
	v_mul_f64 v[7:8], v[27:28], v[7:8]
	v_fma_f64 v[9:10], v[27:28], v[5:6], -v[9:10]
	s_delay_alu instid0(VALU_DEP_2) | instskip(NEXT) | instid1(VALU_DEP_2)
	v_fma_f64 v[5:6], v[25:26], v[5:6], v[7:8]
                                        ; implicit-def: $vgpr25_vgpr26
                                        ; implicit-def: $vgpr7_vgpr8
                                        ; implicit-def: $vgpr27_vgpr28
	v_add_f64 v[21:22], v[13:14], -v[9:10]
	s_delay_alu instid0(VALU_DEP_2)
	v_add_f64 v[23:24], v[15:16], -v[5:6]
                                        ; implicit-def: $vgpr9_vgpr10
; %bb.18:                               ;   in Loop: Header=BB2_4 Depth=1
	s_and_not1_saveexec_b32 s2, s2
	s_cbranch_execz .LBB2_3
; %bb.19:                               ;   in Loop: Header=BB2_4 Depth=1
	v_mul_f64 v[13:14], v[25:26], v[7:8]
	v_mul_f64 v[7:8], v[27:28], v[7:8]
	s_delay_alu instid0(VALU_DEP_2) | instskip(NEXT) | instid1(VALU_DEP_2)
	v_fma_f64 v[13:14], v[27:28], v[5:6], -v[13:14]
	v_fma_f64 v[5:6], v[25:26], v[5:6], v[7:8]
	s_delay_alu instid0(VALU_DEP_2) | instskip(NEXT) | instid1(VALU_DEP_2)
	v_add_f64 v[21:22], v[9:10], v[13:14]
	v_add_f64 v[23:24], v[11:12], v[5:6]
	s_branch .LBB2_3
.LBB2_20:
	s_or_b32 exec_lo, exec_lo, s23
	s_mov_b32 s2, 0
.LBB2_21:
	s_delay_alu instid0(SALU_CYCLE_1)
	s_and_not1_b32 vcc_lo, exec_lo, s2
	s_cbranch_vccnz .LBB2_65
; %bb.22:
	v_cmp_lt_i64_e64 s2, s[6:7], 1
	s_delay_alu instid0(VALU_DEP_1)
	s_and_b32 vcc_lo, exec_lo, s2
	s_cbranch_vccnz .LBB2_65
; %bb.23:
	s_load_b32 s0, s[0:1], 0xbfc
	v_dual_mov_b32 v1, 0 :: v_dual_lshlrev_b32 v6, 4, v0
	v_cmp_gt_u64_e64 s1, 0x10000, s[6:7]
	s_mov_b32 s9, 0
	s_delay_alu instid0(VALU_DEP_2) | instskip(NEXT) | instid1(VALU_DEP_3)
	v_or_b32_e32 v2, 8, v6
	v_mov_b32_e32 v3, v1
	s_delay_alu instid0(VALU_DEP_2) | instskip(NEXT) | instid1(VALU_DEP_1)
	v_add_co_u32 v58, s2, s14, v2
	v_add_co_ci_u32_e64 v59, null, s15, 0, s2
	v_add_co_u32 v60, s2, s12, v2
	s_delay_alu instid0(VALU_DEP_1)
	v_add_co_ci_u32_e64 v61, null, s13, 0, s2
	s_waitcnt lgkmcnt(0)
	s_and_b32 s20, s0, 0xffff
	s_and_b32 s0, s1, exec_lo
	v_add_lshl_u32 v7, v0, s20, 4
	v_mad_u64_u32 v[4:5], null, s20, 48, v[2:3]
	s_cselect_b32 s11, s7, 0
	s_cselect_b32 s10, s6, 0x10000
	s_delay_alu instid0(VALU_DEP_2) | instskip(NEXT) | instid1(VALU_DEP_1)
	v_add_co_u32 v62, s0, s18, v7
	v_add_co_ci_u32_e64 v63, null, s19, 0, s0
	v_add_co_u32 v64, s0, s16, v2
	s_delay_alu instid0(VALU_DEP_1) | instskip(SKIP_1) | instid1(VALU_DEP_1)
	v_add_co_ci_u32_e64 v65, null, s17, 0, s0
	v_add_co_u32 v66, s0, s16, v7
	v_add_co_ci_u32_e64 v67, null, s17, 0, s0
	v_add_co_u32 v68, s0, s18, v2
	s_delay_alu instid0(VALU_DEP_1) | instskip(SKIP_1) | instid1(VALU_DEP_1)
	v_add_co_ci_u32_e64 v69, null, s19, 0, s0
	v_add_co_u32 v70, s0, s12, v7
	v_add_co_ci_u32_e64 v71, null, s13, 0, s0
	v_add_co_u32 v72, vcc_lo, s14, v4
	v_add_co_u32 v74, s0, s14, v7
	v_add_co_ci_u32_e32 v73, vcc_lo, s15, v5, vcc_lo
	v_add_co_ci_u32_e64 v75, null, s15, 0, s0
	s_lshl_b32 s0, s20, 5
	v_add_co_u32 v76, vcc_lo, s12, v4
	v_add_co_u32 v2, s0, s0, v6
	v_add_co_ci_u32_e32 v77, vcc_lo, s13, v5, vcc_lo
	v_add_co_ci_u32_e64 v3, null, 0, 0, s0
	v_add_co_u32 v78, vcc_lo, s16, v4
	v_add_co_ci_u32_e32 v79, vcc_lo, s17, v5, vcc_lo
	v_add_co_u32 v80, vcc_lo, s18, v2
	s_delay_alu instid0(VALU_DEP_4)
	v_add_co_ci_u32_e32 v81, vcc_lo, s19, v3, vcc_lo
	v_add_co_u32 v82, vcc_lo, s18, v4
	v_or_b32_e32 v4, 8, v2
	v_add_co_ci_u32_e32 v83, vcc_lo, s19, v5, vcc_lo
	v_add_co_u32 v84, vcc_lo, s16, v2
	v_add_co_ci_u32_e32 v85, vcc_lo, s17, v3, vcc_lo
	s_delay_alu instid0(VALU_DEP_4)
	v_add_co_u32 v86, vcc_lo, s14, v4
	v_add_co_ci_u32_e32 v87, vcc_lo, s15, v3, vcc_lo
	v_add_co_u32 v88, vcc_lo, s12, v4
	v_add_co_ci_u32_e32 v89, vcc_lo, s13, v3, vcc_lo
	s_lshl_b32 s8, s20, 2
	s_lshl_b32 s21, s20, 1
	s_mul_i32 s22, s20, 3
	s_lshl_b32 s14, s20, 6
	s_mov_b64 s[12:13], s[8:9]
	s_branch .LBB2_25
.LBB2_24:                               ;   in Loop: Header=BB2_25 Depth=1
	s_or_b32 exec_lo, exec_lo, s0
	v_add_co_u32 v0, vcc_lo, v0, s8
	v_add_co_ci_u32_e32 v1, vcc_lo, 0, v1, vcc_lo
	v_add_co_u32 v58, vcc_lo, v58, s14
	v_add_co_ci_u32_e32 v59, vcc_lo, 0, v59, vcc_lo
	;; [unrolled: 2-line block ×15, first 2 shown]
	v_cmp_ge_i64_e64 s0, s[12:13], s[6:7]
	v_cmp_lt_u64_e64 s1, 0xffff, s[12:13]
	v_add_co_u32 v86, vcc_lo, v86, s14
	v_add_co_ci_u32_e32 v87, vcc_lo, 0, v87, vcc_lo
	v_add_co_u32 v88, vcc_lo, v88, s14
	v_add_co_ci_u32_e32 v89, vcc_lo, 0, v89, vcc_lo
	s_or_b32 s0, s0, s1
	s_add_u32 s12, s12, s8
	s_addc_u32 s13, s13, 0
	s_and_b32 vcc_lo, exec_lo, s0
	s_cbranch_vccnz .LBB2_65
.LBB2_25:                               ; =>This Inner Loop Header: Depth=1
	v_mov_b32_e32 v4, 0
	v_mov_b32_e32 v5, 0
	v_cmp_gt_u64_e32 vcc_lo, s[10:11], v[0:1]
	s_delay_alu instid0(VALU_DEP_2)
	v_dual_mov_b32 v25, v5 :: v_dual_mov_b32 v24, v4
	v_dual_mov_b32 v23, v5 :: v_dual_mov_b32 v22, v4
	;; [unrolled: 1-line block ×4, first 2 shown]
	s_and_saveexec_b32 s1, vcc_lo
	s_cbranch_execz .LBB2_27
; %bb.26:                               ;   in Loop: Header=BB2_25 Depth=1
	v_add_co_u32 v2, s0, v60, s4
	s_delay_alu instid0(VALU_DEP_1) | instskip(SKIP_1) | instid1(VALU_DEP_1)
	v_add_co_ci_u32_e64 v3, s0, s5, v61, s0
	v_add_co_u32 v10, s0, v58, s4
	v_add_co_ci_u32_e64 v11, s0, s5, v59, s0
	global_load_b128 v[6:9], v[2:3], off offset:-8
	global_load_b128 v[22:25], v[10:11], off offset:-8
.LBB2_27:                               ;   in Loop: Header=BB2_25 Depth=1
	s_or_b32 exec_lo, exec_lo, s1
	v_dual_mov_b32 v2, v4 :: v_dual_mov_b32 v3, v5
	s_and_saveexec_b32 s1, vcc_lo
	s_cbranch_execz .LBB2_29
; %bb.28:                               ;   in Loop: Header=BB2_25 Depth=1
	v_add_co_u32 v2, s0, v64, s4
	s_delay_alu instid0(VALU_DEP_1)
	v_add_co_ci_u32_e64 v3, s0, s5, v65, s0
	global_load_b128 v[2:5], v[2:3], off offset:-8
.LBB2_29:                               ;   in Loop: Header=BB2_25 Depth=1
	s_or_b32 exec_lo, exec_lo, s1
	v_add_co_u32 v10, s0, s20, v0
	s_delay_alu instid0(VALU_DEP_1) | instskip(SKIP_2) | instid1(VALU_DEP_3)
	v_add_co_ci_u32_e64 v11, s0, 0, v1, s0
	v_mov_b32_e32 v12, 0
	v_mov_b32_e32 v13, 0
	v_cmp_gt_u64_e64 s0, s[10:11], v[10:11]
	s_delay_alu instid0(VALU_DEP_2)
	v_dual_mov_b32 v33, v13 :: v_dual_mov_b32 v32, v12
	v_dual_mov_b32 v31, v13 :: v_dual_mov_b32 v30, v12
	;; [unrolled: 1-line block ×4, first 2 shown]
	s_and_saveexec_b32 s2, s0
	s_cbranch_execz .LBB2_31
; %bb.30:                               ;   in Loop: Header=BB2_25 Depth=1
	v_add_co_u32 v10, s1, v70, s4
	s_delay_alu instid0(VALU_DEP_1) | instskip(SKIP_1) | instid1(VALU_DEP_1)
	v_add_co_ci_u32_e64 v11, s1, s5, v71, s1
	v_add_co_u32 v18, s1, v74, s4
	v_add_co_ci_u32_e64 v19, s1, s5, v75, s1
	global_load_b128 v[14:17], v[10:11], off
	global_load_b128 v[30:33], v[18:19], off
.LBB2_31:                               ;   in Loop: Header=BB2_25 Depth=1
	s_or_b32 exec_lo, exec_lo, s2
	v_dual_mov_b32 v10, v12 :: v_dual_mov_b32 v11, v13
	s_and_saveexec_b32 s2, s0
	s_cbranch_execz .LBB2_33
; %bb.32:                               ;   in Loop: Header=BB2_25 Depth=1
	v_add_co_u32 v10, s1, v66, s4
	s_delay_alu instid0(VALU_DEP_1)
	v_add_co_ci_u32_e64 v11, s1, s5, v67, s1
	global_load_b128 v[10:13], v[10:11], off
.LBB2_33:                               ;   in Loop: Header=BB2_25 Depth=1
	s_or_b32 exec_lo, exec_lo, s2
	v_add_co_u32 v18, s1, s21, v0
	s_delay_alu instid0(VALU_DEP_1) | instskip(SKIP_2) | instid1(VALU_DEP_3)
	v_add_co_ci_u32_e64 v19, s1, 0, v1, s1
	v_mov_b32_e32 v20, 0
	v_mov_b32_e32 v21, 0
	v_cmp_gt_u64_e64 s1, s[10:11], v[18:19]
	s_delay_alu instid0(VALU_DEP_2)
	v_dual_mov_b32 v45, v21 :: v_dual_mov_b32 v44, v20
	v_dual_mov_b32 v43, v21 :: v_dual_mov_b32 v42, v20
	v_dual_mov_b32 v29, v21 :: v_dual_mov_b32 v28, v20
	v_dual_mov_b32 v27, v21 :: v_dual_mov_b32 v26, v20
	s_and_saveexec_b32 s3, s1
	s_cbranch_execz .LBB2_35
; %bb.34:                               ;   in Loop: Header=BB2_25 Depth=1
	v_add_co_u32 v18, s2, v88, s4
	s_delay_alu instid0(VALU_DEP_1) | instskip(SKIP_1) | instid1(VALU_DEP_1)
	v_add_co_ci_u32_e64 v19, s2, s5, v89, s2
	v_add_co_u32 v34, s2, v86, s4
	v_add_co_ci_u32_e64 v35, s2, s5, v87, s2
	global_load_b128 v[26:29], v[18:19], off offset:-8
	global_load_b128 v[42:45], v[34:35], off offset:-8
.LBB2_35:                               ;   in Loop: Header=BB2_25 Depth=1
	s_or_b32 exec_lo, exec_lo, s3
	v_dual_mov_b32 v18, v20 :: v_dual_mov_b32 v19, v21
	s_and_saveexec_b32 s3, s1
	s_cbranch_execz .LBB2_37
; %bb.36:                               ;   in Loop: Header=BB2_25 Depth=1
	v_add_co_u32 v18, s2, v84, s4
	s_delay_alu instid0(VALU_DEP_1)
	v_add_co_ci_u32_e64 v19, s2, s5, v85, s2
	global_load_b128 v[18:21], v[18:19], off
.LBB2_37:                               ;   in Loop: Header=BB2_25 Depth=1
	s_or_b32 exec_lo, exec_lo, s3
	v_add_co_u32 v34, s2, s22, v0
	s_delay_alu instid0(VALU_DEP_1) | instskip(SKIP_2) | instid1(VALU_DEP_3)
	v_add_co_ci_u32_e64 v35, s2, 0, v1, s2
	v_mov_b32_e32 v36, 0
	v_mov_b32_e32 v37, 0
	v_cmp_gt_u64_e64 s2, s[10:11], v[34:35]
	s_delay_alu instid0(VALU_DEP_2)
	v_dual_mov_b32 v49, v37 :: v_dual_mov_b32 v48, v36
	v_dual_mov_b32 v47, v37 :: v_dual_mov_b32 v46, v36
	;; [unrolled: 1-line block ×4, first 2 shown]
	s_and_saveexec_b32 s9, s2
	s_cbranch_execz .LBB2_39
; %bb.38:                               ;   in Loop: Header=BB2_25 Depth=1
	v_add_co_u32 v34, s3, v76, s4
	s_delay_alu instid0(VALU_DEP_1) | instskip(SKIP_1) | instid1(VALU_DEP_1)
	v_add_co_ci_u32_e64 v35, s3, s5, v77, s3
	v_add_co_u32 v46, s3, v72, s4
	v_add_co_ci_u32_e64 v47, s3, s5, v73, s3
	global_load_b128 v[38:41], v[34:35], off offset:-8
	global_load_b128 v[46:49], v[46:47], off offset:-8
.LBB2_39:                               ;   in Loop: Header=BB2_25 Depth=1
	s_or_b32 exec_lo, exec_lo, s9
	v_dual_mov_b32 v34, v36 :: v_dual_mov_b32 v35, v37
	s_and_saveexec_b32 s9, s2
	s_cbranch_execz .LBB2_41
; %bb.40:                               ;   in Loop: Header=BB2_25 Depth=1
	v_add_co_u32 v34, s3, v78, s4
	s_delay_alu instid0(VALU_DEP_1)
	v_add_co_ci_u32_e64 v35, s3, s5, v79, s3
	global_load_b128 v[34:37], v[34:35], off offset:-8
.LBB2_41:                               ;   in Loop: Header=BB2_25 Depth=1
	s_or_b32 exec_lo, exec_lo, s9
	s_waitcnt vmcnt(0)
	v_mul_f64 v[50:51], v[2:3], v[2:3]
	v_add_f64 v[54:55], v[22:23], -v[6:7]
	v_add_f64 v[56:57], v[24:25], -v[8:9]
                                        ; implicit-def: $vgpr52_vgpr53
	s_delay_alu instid0(VALU_DEP_3) | instskip(NEXT) | instid1(VALU_DEP_1)
	v_fma_f64 v[50:51], v[4:5], v[4:5], v[50:51]
	v_cmp_ngt_f64_e64 s3, 0x3fd00000, v[50:51]
	s_delay_alu instid0(VALU_DEP_1) | instskip(NEXT) | instid1(SALU_CYCLE_1)
	s_and_saveexec_b32 s9, s3
	s_xor_b32 s3, exec_lo, s9
; %bb.42:                               ;   in Loop: Header=BB2_25 Depth=1
	v_add_f64 v[4:5], -v[4:5], 0
	v_add_f64 v[2:3], -v[2:3], 1.0
	s_delay_alu instid0(VALU_DEP_2) | instskip(NEXT) | instid1(VALU_DEP_2)
	v_mul_f64 v[6:7], v[56:57], v[4:5]
	v_mul_f64 v[8:9], v[56:57], v[2:3]
                                        ; implicit-def: $vgpr56_vgpr57
	s_delay_alu instid0(VALU_DEP_2) | instskip(NEXT) | instid1(VALU_DEP_2)
	v_fma_f64 v[2:3], v[54:55], v[2:3], -v[6:7]
	v_fma_f64 v[4:5], v[54:55], v[4:5], v[8:9]
                                        ; implicit-def: $vgpr54_vgpr55
                                        ; implicit-def: $vgpr6_vgpr7
	s_delay_alu instid0(VALU_DEP_2) | instskip(NEXT) | instid1(VALU_DEP_2)
	v_add_f64 v[50:51], v[22:23], -v[2:3]
	v_add_f64 v[52:53], v[24:25], -v[4:5]
                                        ; implicit-def: $vgpr4_vgpr5
; %bb.43:                               ;   in Loop: Header=BB2_25 Depth=1
	s_and_not1_saveexec_b32 s3, s3
; %bb.44:                               ;   in Loop: Header=BB2_25 Depth=1
	v_mul_f64 v[22:23], v[56:57], v[4:5]
	v_mul_f64 v[24:25], v[56:57], v[2:3]
	s_delay_alu instid0(VALU_DEP_2) | instskip(NEXT) | instid1(VALU_DEP_2)
	v_fma_f64 v[2:3], v[54:55], v[2:3], -v[22:23]
	v_fma_f64 v[4:5], v[54:55], v[4:5], v[24:25]
	s_delay_alu instid0(VALU_DEP_2) | instskip(NEXT) | instid1(VALU_DEP_2)
	v_add_f64 v[50:51], v[6:7], v[2:3]
	v_add_f64 v[52:53], v[8:9], v[4:5]
; %bb.45:                               ;   in Loop: Header=BB2_25 Depth=1
	s_or_b32 exec_lo, exec_lo, s3
	v_mul_f64 v[2:3], v[10:11], v[10:11]
	v_add_f64 v[6:7], v[30:31], -v[14:15]
	v_add_f64 v[8:9], v[32:33], -v[16:17]
                                        ; implicit-def: $vgpr4_vgpr5
	s_delay_alu instid0(VALU_DEP_3) | instskip(NEXT) | instid1(VALU_DEP_1)
	v_fma_f64 v[2:3], v[12:13], v[12:13], v[2:3]
	v_cmp_ngt_f64_e64 s3, 0x3fd00000, v[2:3]
	s_delay_alu instid0(VALU_DEP_1) | instskip(NEXT) | instid1(SALU_CYCLE_1)
	s_and_saveexec_b32 s9, s3
	s_xor_b32 s3, exec_lo, s9
; %bb.46:                               ;   in Loop: Header=BB2_25 Depth=1
	v_add_f64 v[2:3], -v[12:13], 0
	v_add_f64 v[4:5], -v[10:11], 1.0
                                        ; implicit-def: $vgpr12_vgpr13
                                        ; implicit-def: $vgpr14_vgpr15
	s_delay_alu instid0(VALU_DEP_2) | instskip(NEXT) | instid1(VALU_DEP_2)
	v_mul_f64 v[10:11], v[8:9], v[2:3]
	v_mul_f64 v[8:9], v[8:9], v[4:5]
	s_delay_alu instid0(VALU_DEP_2) | instskip(NEXT) | instid1(VALU_DEP_2)
	v_fma_f64 v[4:5], v[6:7], v[4:5], -v[10:11]
	v_fma_f64 v[6:7], v[6:7], v[2:3], v[8:9]
                                        ; implicit-def: $vgpr8_vgpr9
	s_delay_alu instid0(VALU_DEP_2) | instskip(NEXT) | instid1(VALU_DEP_2)
	v_add_f64 v[2:3], v[30:31], -v[4:5]
	v_add_f64 v[4:5], v[32:33], -v[6:7]
                                        ; implicit-def: $vgpr6_vgpr7
; %bb.47:                               ;   in Loop: Header=BB2_25 Depth=1
	s_and_not1_saveexec_b32 s3, s3
; %bb.48:                               ;   in Loop: Header=BB2_25 Depth=1
	v_mul_f64 v[2:3], v[8:9], v[12:13]
	v_mul_f64 v[4:5], v[8:9], v[10:11]
	s_delay_alu instid0(VALU_DEP_2) | instskip(NEXT) | instid1(VALU_DEP_2)
	v_fma_f64 v[2:3], v[6:7], v[10:11], -v[2:3]
	v_fma_f64 v[4:5], v[6:7], v[12:13], v[4:5]
	s_delay_alu instid0(VALU_DEP_2) | instskip(NEXT) | instid1(VALU_DEP_2)
	v_add_f64 v[2:3], v[14:15], v[2:3]
	v_add_f64 v[4:5], v[16:17], v[4:5]
; %bb.49:                               ;   in Loop: Header=BB2_25 Depth=1
	s_or_b32 exec_lo, exec_lo, s3
	v_mul_f64 v[6:7], v[18:19], v[18:19]
	v_add_f64 v[10:11], v[42:43], -v[26:27]
	v_add_f64 v[12:13], v[44:45], -v[28:29]
                                        ; implicit-def: $vgpr8_vgpr9
	s_delay_alu instid0(VALU_DEP_3) | instskip(NEXT) | instid1(VALU_DEP_1)
	v_fma_f64 v[6:7], v[20:21], v[20:21], v[6:7]
	v_cmp_ngt_f64_e64 s3, 0x3fd00000, v[6:7]
	s_delay_alu instid0(VALU_DEP_1) | instskip(NEXT) | instid1(SALU_CYCLE_1)
	s_and_saveexec_b32 s9, s3
	s_xor_b32 s3, exec_lo, s9
; %bb.50:                               ;   in Loop: Header=BB2_25 Depth=1
	v_add_f64 v[6:7], -v[20:21], 0
	v_add_f64 v[8:9], -v[18:19], 1.0
                                        ; implicit-def: $vgpr20_vgpr21
                                        ; implicit-def: $vgpr26_vgpr27
	s_delay_alu instid0(VALU_DEP_2) | instskip(NEXT) | instid1(VALU_DEP_2)
	v_mul_f64 v[14:15], v[12:13], v[6:7]
	v_mul_f64 v[12:13], v[12:13], v[8:9]
	s_delay_alu instid0(VALU_DEP_2) | instskip(NEXT) | instid1(VALU_DEP_2)
	v_fma_f64 v[8:9], v[10:11], v[8:9], -v[14:15]
	v_fma_f64 v[10:11], v[10:11], v[6:7], v[12:13]
                                        ; implicit-def: $vgpr12_vgpr13
	s_delay_alu instid0(VALU_DEP_2) | instskip(NEXT) | instid1(VALU_DEP_2)
	v_add_f64 v[6:7], v[42:43], -v[8:9]
	v_add_f64 v[8:9], v[44:45], -v[10:11]
                                        ; implicit-def: $vgpr10_vgpr11
; %bb.51:                               ;   in Loop: Header=BB2_25 Depth=1
	s_and_not1_saveexec_b32 s3, s3
; %bb.52:                               ;   in Loop: Header=BB2_25 Depth=1
	v_mul_f64 v[6:7], v[12:13], v[20:21]
	v_mul_f64 v[8:9], v[12:13], v[18:19]
	s_delay_alu instid0(VALU_DEP_2) | instskip(NEXT) | instid1(VALU_DEP_2)
	v_fma_f64 v[6:7], v[10:11], v[18:19], -v[6:7]
	v_fma_f64 v[8:9], v[10:11], v[20:21], v[8:9]
	s_delay_alu instid0(VALU_DEP_2) | instskip(NEXT) | instid1(VALU_DEP_2)
	v_add_f64 v[6:7], v[26:27], v[6:7]
	v_add_f64 v[8:9], v[28:29], v[8:9]
; %bb.53:                               ;   in Loop: Header=BB2_25 Depth=1
	s_or_b32 exec_lo, exec_lo, s3
	v_mul_f64 v[10:11], v[34:35], v[34:35]
	v_add_f64 v[14:15], v[46:47], -v[38:39]
	v_add_f64 v[16:17], v[48:49], -v[40:41]
                                        ; implicit-def: $vgpr12_vgpr13
	s_delay_alu instid0(VALU_DEP_3) | instskip(NEXT) | instid1(VALU_DEP_1)
	v_fma_f64 v[10:11], v[36:37], v[36:37], v[10:11]
	v_cmp_ngt_f64_e64 s3, 0x3fd00000, v[10:11]
	s_delay_alu instid0(VALU_DEP_1) | instskip(NEXT) | instid1(SALU_CYCLE_1)
	s_and_saveexec_b32 s9, s3
	s_xor_b32 s3, exec_lo, s9
	s_cbranch_execnz .LBB2_59
; %bb.54:                               ;   in Loop: Header=BB2_25 Depth=1
	s_and_not1_saveexec_b32 s3, s3
	s_cbranch_execnz .LBB2_60
.LBB2_55:                               ;   in Loop: Header=BB2_25 Depth=1
	s_or_b32 exec_lo, exec_lo, s3
	s_and_saveexec_b32 s3, vcc_lo
	s_delay_alu instid0(SALU_CYCLE_1)
	s_xor_b32 s3, exec_lo, s3
	s_cbranch_execnz .LBB2_61
.LBB2_56:                               ;   in Loop: Header=BB2_25 Depth=1
	s_or_b32 exec_lo, exec_lo, s3
	s_and_saveexec_b32 s3, s0
	s_cbranch_execnz .LBB2_62
.LBB2_57:                               ;   in Loop: Header=BB2_25 Depth=1
	s_or_b32 exec_lo, exec_lo, s3
	s_and_saveexec_b32 s0, s1
	s_cbranch_execnz .LBB2_63
.LBB2_58:                               ;   in Loop: Header=BB2_25 Depth=1
	s_or_b32 exec_lo, exec_lo, s0
	s_and_saveexec_b32 s0, s2
	s_cbranch_execz .LBB2_24
	s_branch .LBB2_64
.LBB2_59:                               ;   in Loop: Header=BB2_25 Depth=1
	v_add_f64 v[10:11], -v[36:37], 0
	v_add_f64 v[12:13], -v[34:35], 1.0
                                        ; implicit-def: $vgpr36_vgpr37
                                        ; implicit-def: $vgpr38_vgpr39
	s_delay_alu instid0(VALU_DEP_2) | instskip(NEXT) | instid1(VALU_DEP_2)
	v_mul_f64 v[18:19], v[16:17], v[10:11]
	v_mul_f64 v[16:17], v[16:17], v[12:13]
	s_delay_alu instid0(VALU_DEP_2) | instskip(NEXT) | instid1(VALU_DEP_2)
	v_fma_f64 v[12:13], v[14:15], v[12:13], -v[18:19]
	v_fma_f64 v[14:15], v[14:15], v[10:11], v[16:17]
                                        ; implicit-def: $vgpr16_vgpr17
	s_delay_alu instid0(VALU_DEP_2) | instskip(NEXT) | instid1(VALU_DEP_2)
	v_add_f64 v[10:11], v[46:47], -v[12:13]
	v_add_f64 v[12:13], v[48:49], -v[14:15]
                                        ; implicit-def: $vgpr14_vgpr15
	s_and_not1_saveexec_b32 s3, s3
	s_cbranch_execz .LBB2_55
.LBB2_60:                               ;   in Loop: Header=BB2_25 Depth=1
	s_delay_alu instid0(VALU_DEP_3) | instskip(SKIP_1) | instid1(VALU_DEP_2)
	v_mul_f64 v[10:11], v[16:17], v[36:37]
	v_mul_f64 v[12:13], v[16:17], v[34:35]
	v_fma_f64 v[10:11], v[14:15], v[34:35], -v[10:11]
	s_delay_alu instid0(VALU_DEP_2) | instskip(NEXT) | instid1(VALU_DEP_2)
	v_fma_f64 v[12:13], v[14:15], v[36:37], v[12:13]
	v_add_f64 v[10:11], v[38:39], v[10:11]
	s_delay_alu instid0(VALU_DEP_2) | instskip(SKIP_2) | instid1(SALU_CYCLE_1)
	v_add_f64 v[12:13], v[40:41], v[12:13]
	s_or_b32 exec_lo, exec_lo, s3
	s_and_saveexec_b32 s3, vcc_lo
	s_xor_b32 s3, exec_lo, s3
	s_cbranch_execz .LBB2_56
.LBB2_61:                               ;   in Loop: Header=BB2_25 Depth=1
	v_add_co_u32 v14, vcc_lo, v68, s4
	v_add_co_ci_u32_e32 v15, vcc_lo, s5, v69, vcc_lo
	global_store_b128 v[14:15], v[50:53], off offset:-8
	s_or_b32 exec_lo, exec_lo, s3
	s_and_saveexec_b32 s3, s0
	s_cbranch_execz .LBB2_57
.LBB2_62:                               ;   in Loop: Header=BB2_25 Depth=1
	v_add_co_u32 v14, vcc_lo, v62, s4
	v_add_co_ci_u32_e32 v15, vcc_lo, s5, v63, vcc_lo
	global_store_b128 v[14:15], v[2:5], off
	s_or_b32 exec_lo, exec_lo, s3
	s_and_saveexec_b32 s0, s1
	s_cbranch_execz .LBB2_58
.LBB2_63:                               ;   in Loop: Header=BB2_25 Depth=1
	v_add_co_u32 v2, vcc_lo, v80, s4
	v_add_co_ci_u32_e32 v3, vcc_lo, s5, v81, vcc_lo
	global_store_b128 v[2:3], v[6:9], off
	s_or_b32 exec_lo, exec_lo, s0
	s_and_saveexec_b32 s0, s2
	s_cbranch_execz .LBB2_24
.LBB2_64:                               ;   in Loop: Header=BB2_25 Depth=1
	v_add_co_u32 v2, vcc_lo, v82, s4
	v_add_co_ci_u32_e32 v3, vcc_lo, s5, v83, vcc_lo
	global_store_b128 v[2:3], v[10:13], off offset:-8
	s_branch .LBB2_24
.LBB2_65:
	s_nop 0
	s_sendmsg sendmsg(MSG_DEALLOC_VGPRS)
	s_endpgm
	.section	.rodata,"a",@progbits
	.p2align	6, 0x0
	.amdhsa_kernel _ZN2at6native12_GLOBAL__N_125multi_tensor_apply_kernelINS1_18TensorListMetadataILi4EEENS1_20TernaryOpListFunctorIN3c107complexIdEELi4ELi3ELi3EEEJNS0_11LerpFunctorIS8_EEEEEvT_T0_DpT1_
		.amdhsa_group_segment_fixed_size 0
		.amdhsa_private_segment_fixed_size 0
		.amdhsa_kernarg_size 3312
		.amdhsa_user_sgpr_count 15
		.amdhsa_user_sgpr_dispatch_ptr 0
		.amdhsa_user_sgpr_queue_ptr 0
		.amdhsa_user_sgpr_kernarg_segment_ptr 1
		.amdhsa_user_sgpr_dispatch_id 0
		.amdhsa_user_sgpr_private_segment_size 0
		.amdhsa_wavefront_size32 1
		.amdhsa_uses_dynamic_stack 0
		.amdhsa_enable_private_segment 0
		.amdhsa_system_sgpr_workgroup_id_x 1
		.amdhsa_system_sgpr_workgroup_id_y 0
		.amdhsa_system_sgpr_workgroup_id_z 0
		.amdhsa_system_sgpr_workgroup_info 0
		.amdhsa_system_vgpr_workitem_id 0
		.amdhsa_next_free_vgpr 90
		.amdhsa_next_free_sgpr 30
		.amdhsa_reserve_vcc 1
		.amdhsa_float_round_mode_32 0
		.amdhsa_float_round_mode_16_64 0
		.amdhsa_float_denorm_mode_32 3
		.amdhsa_float_denorm_mode_16_64 3
		.amdhsa_dx10_clamp 1
		.amdhsa_ieee_mode 1
		.amdhsa_fp16_overflow 0
		.amdhsa_workgroup_processor_mode 1
		.amdhsa_memory_ordered 1
		.amdhsa_forward_progress 0
		.amdhsa_shared_vgpr_count 0
		.amdhsa_exception_fp_ieee_invalid_op 0
		.amdhsa_exception_fp_denorm_src 0
		.amdhsa_exception_fp_ieee_div_zero 0
		.amdhsa_exception_fp_ieee_overflow 0
		.amdhsa_exception_fp_ieee_underflow 0
		.amdhsa_exception_fp_ieee_inexact 0
		.amdhsa_exception_int_div_zero 0
	.end_amdhsa_kernel
	.section	.text._ZN2at6native12_GLOBAL__N_125multi_tensor_apply_kernelINS1_18TensorListMetadataILi4EEENS1_20TernaryOpListFunctorIN3c107complexIdEELi4ELi3ELi3EEEJNS0_11LerpFunctorIS8_EEEEEvT_T0_DpT1_,"axG",@progbits,_ZN2at6native12_GLOBAL__N_125multi_tensor_apply_kernelINS1_18TensorListMetadataILi4EEENS1_20TernaryOpListFunctorIN3c107complexIdEELi4ELi3ELi3EEEJNS0_11LerpFunctorIS8_EEEEEvT_T0_DpT1_,comdat
.Lfunc_end2:
	.size	_ZN2at6native12_GLOBAL__N_125multi_tensor_apply_kernelINS1_18TensorListMetadataILi4EEENS1_20TernaryOpListFunctorIN3c107complexIdEELi4ELi3ELi3EEEJNS0_11LerpFunctorIS8_EEEEEvT_T0_DpT1_, .Lfunc_end2-_ZN2at6native12_GLOBAL__N_125multi_tensor_apply_kernelINS1_18TensorListMetadataILi4EEENS1_20TernaryOpListFunctorIN3c107complexIdEELi4ELi3ELi3EEEJNS0_11LerpFunctorIS8_EEEEEvT_T0_DpT1_
                                        ; -- End function
	.section	.AMDGPU.csdata,"",@progbits
; Kernel info:
; codeLenInByte = 3852
; NumSgprs: 32
; NumVgprs: 90
; ScratchSize: 0
; MemoryBound: 1
; FloatMode: 240
; IeeeMode: 1
; LDSByteSize: 0 bytes/workgroup (compile time only)
; SGPRBlocks: 3
; VGPRBlocks: 11
; NumSGPRsForWavesPerEU: 32
; NumVGPRsForWavesPerEU: 90
; Occupancy: 16
; WaveLimiterHint : 0
; COMPUTE_PGM_RSRC2:SCRATCH_EN: 0
; COMPUTE_PGM_RSRC2:USER_SGPR: 15
; COMPUTE_PGM_RSRC2:TRAP_HANDLER: 0
; COMPUTE_PGM_RSRC2:TGID_X_EN: 1
; COMPUTE_PGM_RSRC2:TGID_Y_EN: 0
; COMPUTE_PGM_RSRC2:TGID_Z_EN: 0
; COMPUTE_PGM_RSRC2:TIDIG_COMP_CNT: 0
	.section	.text._ZN2at6native12_GLOBAL__N_125multi_tensor_apply_kernelINS1_18TensorListMetadataILi4EEENS1_20TernaryOpListFunctorIN3c107complexIfEELi4ELi3ELi3EEEJNS0_11LerpFunctorIS8_EEEEEvT_T0_DpT1_,"axG",@progbits,_ZN2at6native12_GLOBAL__N_125multi_tensor_apply_kernelINS1_18TensorListMetadataILi4EEENS1_20TernaryOpListFunctorIN3c107complexIfEELi4ELi3ELi3EEEJNS0_11LerpFunctorIS8_EEEEEvT_T0_DpT1_,comdat
	.globl	_ZN2at6native12_GLOBAL__N_125multi_tensor_apply_kernelINS1_18TensorListMetadataILi4EEENS1_20TernaryOpListFunctorIN3c107complexIfEELi4ELi3ELi3EEEJNS0_11LerpFunctorIS8_EEEEEvT_T0_DpT1_ ; -- Begin function _ZN2at6native12_GLOBAL__N_125multi_tensor_apply_kernelINS1_18TensorListMetadataILi4EEENS1_20TernaryOpListFunctorIN3c107complexIfEELi4ELi3ELi3EEEJNS0_11LerpFunctorIS8_EEEEEvT_T0_DpT1_
	.p2align	8
	.type	_ZN2at6native12_GLOBAL__N_125multi_tensor_apply_kernelINS1_18TensorListMetadataILi4EEENS1_20TernaryOpListFunctorIN3c107complexIfEELi4ELi3ELi3EEEJNS0_11LerpFunctorIS8_EEEEEvT_T0_DpT1_,@function
_ZN2at6native12_GLOBAL__N_125multi_tensor_apply_kernelINS1_18TensorListMetadataILi4EEENS1_20TernaryOpListFunctorIN3c107complexIfEELi4ELi3ELi3EEEJNS0_11LerpFunctorIS8_EEEEEvT_T0_DpT1_: ; @_ZN2at6native12_GLOBAL__N_125multi_tensor_apply_kernelINS1_18TensorListMetadataILi4EEENS1_20TernaryOpListFunctorIN3c107complexIfEELi4ELi3ELi3EEEJNS0_11LerpFunctorIS8_EEEEEvT_T0_DpT1_
; %bb.0:
	v_mov_b32_e32 v1, s15
	s_add_u32 s2, s0, s15
	s_mul_hi_u32 s3, s15, 3
	s_mul_i32 s15, s15, 3
	s_addc_u32 s4, s1, 0
	global_load_u8 v1, v1, s[0:1] offset:1440
	s_add_u32 s2, s2, s15
	s_addc_u32 s3, s4, s3
	s_mov_b32 s27, 0
	s_load_b32 s6, s[2:3], 0x6e0
	s_mov_b32 s29, s27
	s_waitcnt lgkmcnt(0)
	s_ashr_i32 s7, s6, 31
	s_waitcnt vmcnt(0)
	v_readfirstlane_b32 s5, v1
	s_delay_alu instid0(VALU_DEP_1)
	s_lshl_b32 s2, s5, 3
	s_lshl_b64 s[4:5], s[6:7], 19
	s_clause 0x4
	s_load_b64 s[12:13], s[0:1], s2 offset:0x0
	s_load_b64 s[14:15], s[0:1], s2 offset:0x120
	;; [unrolled: 1-line block ×5, first 2 shown]
	s_waitcnt lgkmcnt(0)
	s_add_u32 s3, s12, s4
	s_addc_u32 s8, s13, s5
	s_add_u32 s9, s14, s4
	s_addc_u32 s10, s15, s5
	s_and_b32 s26, s9, 31
	s_add_u32 s11, s16, s4
	s_addc_u32 s20, s17, s5
	s_add_u32 s21, s18, s4
	s_addc_u32 s22, s19, s5
	s_or_b32 s2, s21, s11
	s_delay_alu instid0(SALU_CYCLE_1) | instskip(NEXT) | instid1(SALU_CYCLE_1)
	s_and_b32 s2, s2, 31
	s_cmp_lg_u32 s2, 0
	s_cselect_b32 s2, -1, 0
	s_lshl_b64 s[6:7], s[6:7], 16
	s_and_b32 s28, s3, 31
	s_cmp_lg_u64 s[26:27], 0
	s_cselect_b32 s23, -1, 0
	s_delay_alu instid0(SALU_CYCLE_1) | instskip(SKIP_3) | instid1(SALU_CYCLE_1)
	s_or_b32 s2, s2, s23
	s_sub_u32 s6, s24, s6
	s_subb_u32 s7, s25, s7
	s_and_b32 s26, s24, 3
	s_or_b64 s[24:25], s[28:29], s[26:27]
	s_delay_alu instid0(SALU_CYCLE_1) | instskip(SKIP_1) | instid1(SALU_CYCLE_1)
	s_cmp_lg_u64 s[24:25], 0
	s_cselect_b32 s23, -1, 0
	s_or_b32 s2, s2, s23
	s_delay_alu instid0(SALU_CYCLE_1)
	s_and_not1_b32 vcc_lo, exec_lo, s2
	s_mov_b32 s2, -1
	s_cbranch_vccz .LBB3_21
; %bb.1:
	v_dual_mov_b32 v30, 0 :: v_dual_lshlrev_b32 v29, 2, v0
	s_mov_b32 s23, exec_lo
	s_delay_alu instid0(VALU_DEP_1)
	v_cmpx_gt_i64_e64 s[6:7], v[29:30]
	s_cbranch_execz .LBB3_20
; %bb.2:
	s_load_b32 s2, s[0:1], 0xbfc
	v_lshlrev_b32_e32 v31, 5, v0
	s_mov_b32 s24, 0
	s_waitcnt lgkmcnt(0)
	s_and_b32 s2, s2, 0xffff
	s_delay_alu instid0(SALU_CYCLE_1)
	v_add_lshl_u32 v29, v0, s2, 2
	s_lshl_b32 s25, s2, 2
	s_lshl_b32 s26, s2, 5
	s_branch .LBB3_4
.LBB3_3:                                ;   in Loop: Header=BB3_4 Depth=1
	s_or_b32 exec_lo, exec_lo, s2
	v_cmp_le_i64_e32 vcc_lo, s[6:7], v[29:30]
	v_cmp_lt_u64_e64 s2, 0xffff, v[29:30]
	v_add_co_u32 v5, s27, s21, v31
	s_delay_alu instid0(VALU_DEP_1)
	v_add_co_ci_u32_e64 v6, null, s22, 0, s27
	s_clause 0x1
	global_store_b128 v[5:6], v[1:4], off
	global_store_b128 v[5:6], v[17:20], off offset:16
	s_or_b32 s2, vcc_lo, s2
	s_add_u32 s3, s3, s26
	s_addc_u32 s8, s8, 0
	s_add_u32 s21, s21, s26
	s_addc_u32 s22, s22, 0
	s_add_u32 s9, s9, s26
	v_add_co_u32 v29, vcc_lo, v29, s25
	s_addc_u32 s10, s10, 0
	s_add_u32 s11, s11, s26
	v_add_co_ci_u32_e32 v30, vcc_lo, 0, v30, vcc_lo
	s_addc_u32 s20, s20, 0
	s_and_b32 s2, exec_lo, s2
	s_delay_alu instid0(SALU_CYCLE_1) | instskip(NEXT) | instid1(SALU_CYCLE_1)
	s_or_b32 s24, s2, s24
	s_and_not1_b32 exec_lo, exec_lo, s24
	s_cbranch_execz .LBB3_20
.LBB3_4:                                ; =>This Inner Loop Header: Depth=1
	v_add_co_u32 v1, s2, s11, v31
	s_delay_alu instid0(VALU_DEP_1) | instskip(SKIP_1) | instid1(VALU_DEP_1)
	v_add_co_ci_u32_e64 v2, null, s20, 0, s2
	v_add_co_u32 v3, s2, s3, v31
	v_add_co_ci_u32_e64 v4, null, s8, 0, s2
	global_load_b128 v[17:20], v[1:2], off
	v_add_co_u32 v13, s2, s9, v31
	s_delay_alu instid0(VALU_DEP_1)
	v_add_co_ci_u32_e64 v14, null, s10, 0, s2
	global_load_b128 v[21:24], v[3:4], off
	global_load_b128 v[25:28], v[13:14], off
	global_load_b128 v[5:8], v[1:2], off offset:16
	global_load_b128 v[9:12], v[3:4], off offset:16
	;; [unrolled: 1-line block ×3, first 2 shown]
	s_mov_b32 s2, exec_lo
                                        ; implicit-def: $vgpr2
	s_waitcnt vmcnt(3)
	v_dual_mul_f32 v1, v18, v18 :: v_dual_sub_f32 v4, v25, v21
	s_delay_alu instid0(VALU_DEP_1) | instskip(SKIP_1) | instid1(VALU_DEP_2)
	v_fmac_f32_e32 v1, v17, v17
	v_sub_f32_e32 v3, v26, v22
	v_cmpx_ngt_f32_e32 0x3e800000, v1
	s_xor_b32 s2, exec_lo, s2
; %bb.5:                                ;   in Loop: Header=BB3_4 Depth=1
	v_sub_f32_e32 v1, 1.0, v17
	s_delay_alu instid0(VALU_DEP_3) | instskip(SKIP_1) | instid1(VALU_DEP_2)
	v_mul_f32_e64 v2, v3, -v18
	v_mul_f32_e64 v32, v4, -v18
	v_fma_f32 v2, v4, v1, -v2
	s_delay_alu instid0(VALU_DEP_2) | instskip(NEXT) | instid1(VALU_DEP_1)
	v_fmac_f32_e32 v32, v3, v1
                                        ; implicit-def: $vgpr3
                                        ; implicit-def: $vgpr4
	v_dual_sub_f32 v1, v25, v2 :: v_dual_sub_f32 v2, v26, v32
; %bb.6:                                ;   in Loop: Header=BB3_4 Depth=1
	s_and_not1_saveexec_b32 s2, s2
; %bb.7:                                ;   in Loop: Header=BB3_4 Depth=1
	v_mul_f32_e32 v1, v3, v18
	s_delay_alu instid0(VALU_DEP_1) | instskip(NEXT) | instid1(VALU_DEP_1)
	v_fma_f32 v1, v4, v17, -v1
	v_dual_mul_f32 v2, v4, v18 :: v_dual_add_f32 v1, v21, v1
	s_delay_alu instid0(VALU_DEP_1) | instskip(NEXT) | instid1(VALU_DEP_1)
	v_fmac_f32_e32 v2, v3, v17
	v_add_f32_e32 v2, v22, v2
; %bb.8:                                ;   in Loop: Header=BB3_4 Depth=1
	s_or_b32 exec_lo, exec_lo, s2
	v_mul_f32_e32 v3, v20, v20
	v_sub_f32_e32 v17, v27, v23
	v_sub_f32_e32 v25, v28, v24
	s_mov_b32 s2, exec_lo
	s_delay_alu instid0(VALU_DEP_3) | instskip(NEXT) | instid1(VALU_DEP_1)
	v_fmac_f32_e32 v3, v19, v19
	v_cmpx_ngt_f32_e32 0x3e800000, v3
	s_xor_b32 s2, exec_lo, s2
; %bb.9:                                ;   in Loop: Header=BB3_4 Depth=1
	v_sub_f32_e32 v3, 1.0, v19
	v_mul_f32_e64 v4, v25, -v20
	v_mul_f32_e64 v18, v17, -v20
                                        ; implicit-def: $vgpr21_vgpr22_vgpr23_vgpr24
	s_delay_alu instid0(VALU_DEP_2) | instskip(NEXT) | instid1(VALU_DEP_2)
	v_fma_f32 v4, v17, v3, -v4
	v_fmac_f32_e32 v18, v25, v3
                                        ; implicit-def: $vgpr25
	s_delay_alu instid0(VALU_DEP_1)
	v_dual_sub_f32 v3, v27, v4 :: v_dual_sub_f32 v4, v28, v18
                                        ; implicit-def: $vgpr17_vgpr18_vgpr19_vgpr20
                                        ; implicit-def: $vgpr17
; %bb.10:                               ;   in Loop: Header=BB3_4 Depth=1
	s_and_not1_saveexec_b32 s2, s2
; %bb.11:                               ;   in Loop: Header=BB3_4 Depth=1
	v_mul_f32_e32 v3, v25, v20
	s_delay_alu instid0(VALU_DEP_1) | instskip(NEXT) | instid1(VALU_DEP_1)
	v_fma_f32 v3, v17, v19, -v3
	v_dual_mul_f32 v4, v17, v20 :: v_dual_add_f32 v3, v23, v3
	s_delay_alu instid0(VALU_DEP_1) | instskip(NEXT) | instid1(VALU_DEP_1)
	v_fmac_f32_e32 v4, v25, v19
	v_add_f32_e32 v4, v24, v4
; %bb.12:                               ;   in Loop: Header=BB3_4 Depth=1
	s_or_b32 exec_lo, exec_lo, s2
	s_waitcnt vmcnt(0)
	v_dual_mul_f32 v17, v6, v6 :: v_dual_sub_f32 v20, v13, v9
	v_sub_f32_e32 v19, v14, v10
	s_mov_b32 s2, exec_lo
                                        ; implicit-def: $vgpr18
	s_delay_alu instid0(VALU_DEP_2) | instskip(NEXT) | instid1(VALU_DEP_1)
	v_fmac_f32_e32 v17, v5, v5
	v_cmpx_ngt_f32_e32 0x3e800000, v17
	s_xor_b32 s2, exec_lo, s2
; %bb.13:                               ;   in Loop: Header=BB3_4 Depth=1
	v_sub_f32_e32 v17, 1.0, v5
	v_mul_f32_e64 v18, v19, -v6
	v_mul_f32_e64 v21, v20, -v6
	s_delay_alu instid0(VALU_DEP_2) | instskip(NEXT) | instid1(VALU_DEP_2)
	v_fma_f32 v18, v20, v17, -v18
	v_fmac_f32_e32 v21, v19, v17
                                        ; implicit-def: $vgpr19
                                        ; implicit-def: $vgpr20
	s_delay_alu instid0(VALU_DEP_1)
	v_dual_sub_f32 v17, v13, v18 :: v_dual_sub_f32 v18, v14, v21
; %bb.14:                               ;   in Loop: Header=BB3_4 Depth=1
	s_and_not1_saveexec_b32 s2, s2
; %bb.15:                               ;   in Loop: Header=BB3_4 Depth=1
	v_mul_f32_e32 v13, v19, v6
	s_delay_alu instid0(VALU_DEP_1) | instskip(NEXT) | instid1(VALU_DEP_1)
	v_fma_f32 v13, v20, v5, -v13
	v_dual_mul_f32 v6, v20, v6 :: v_dual_add_f32 v17, v9, v13
	s_delay_alu instid0(VALU_DEP_1) | instskip(NEXT) | instid1(VALU_DEP_1)
	v_fmac_f32_e32 v6, v19, v5
	v_add_f32_e32 v18, v10, v6
; %bb.16:                               ;   in Loop: Header=BB3_4 Depth=1
	s_or_b32 exec_lo, exec_lo, s2
	v_dual_mul_f32 v6, v8, v8 :: v_dual_sub_f32 v5, v15, v11
	s_mov_b32 s2, exec_lo
	s_delay_alu instid0(VALU_DEP_1) | instskip(NEXT) | instid1(VALU_DEP_1)
	v_dual_sub_f32 v13, v16, v12 :: v_dual_fmac_f32 v6, v7, v7
	v_cmpx_ngt_f32_e32 0x3e800000, v6
	s_xor_b32 s2, exec_lo, s2
; %bb.17:                               ;   in Loop: Header=BB3_4 Depth=1
	v_sub_f32_e32 v6, 1.0, v7
	s_delay_alu instid0(VALU_DEP_3) | instskip(SKIP_1) | instid1(VALU_DEP_2)
	v_mul_f32_e64 v7, v13, -v8
	v_mul_f32_e64 v8, v5, -v8
                                        ; implicit-def: $vgpr9_vgpr10_vgpr11_vgpr12
	v_fma_f32 v5, v5, v6, -v7
	s_delay_alu instid0(VALU_DEP_1) | instskip(NEXT) | instid1(VALU_DEP_1)
	v_dual_sub_f32 v19, v15, v5 :: v_dual_fmac_f32 v8, v13, v6
                                        ; implicit-def: $vgpr13
	v_sub_f32_e32 v20, v16, v8
                                        ; implicit-def: $vgpr5_vgpr6_vgpr7_vgpr8
                                        ; implicit-def: $vgpr5
; %bb.18:                               ;   in Loop: Header=BB3_4 Depth=1
	s_and_not1_saveexec_b32 s2, s2
	s_cbranch_execz .LBB3_3
; %bb.19:                               ;   in Loop: Header=BB3_4 Depth=1
	v_mul_f32_e32 v6, v13, v8
	v_mul_f32_e32 v8, v5, v8
	s_delay_alu instid0(VALU_DEP_2) | instskip(NEXT) | instid1(VALU_DEP_1)
	v_fma_f32 v5, v5, v7, -v6
	v_dual_fmac_f32 v8, v13, v7 :: v_dual_add_f32 v19, v11, v5
	s_delay_alu instid0(VALU_DEP_1)
	v_add_f32_e32 v20, v12, v8
	s_branch .LBB3_3
.LBB3_20:
	s_or_b32 exec_lo, exec_lo, s23
	s_mov_b32 s2, 0
.LBB3_21:
	s_delay_alu instid0(SALU_CYCLE_1)
	s_and_not1_b32 vcc_lo, exec_lo, s2
	s_cbranch_vccnz .LBB3_65
; %bb.22:
	v_cmp_lt_i64_e64 s2, s[6:7], 1
	s_delay_alu instid0(VALU_DEP_1)
	s_and_b32 vcc_lo, exec_lo, s2
	s_cbranch_vccnz .LBB3_65
; %bb.23:
	s_load_b32 s0, s[0:1], 0xbfc
	v_dual_mov_b32 v1, 0 :: v_dual_lshlrev_b32 v6, 3, v0
	v_cmp_gt_u64_e64 s1, 0x10000, s[6:7]
	s_mov_b32 s9, 0
	s_delay_alu instid0(VALU_DEP_2) | instskip(NEXT) | instid1(VALU_DEP_3)
	v_or_b32_e32 v2, 4, v6
	v_mov_b32_e32 v3, v1
	s_delay_alu instid0(VALU_DEP_2) | instskip(NEXT) | instid1(VALU_DEP_1)
	v_add_co_u32 v28, s2, s14, v2
	v_add_co_ci_u32_e64 v29, null, s15, 0, s2
	v_add_co_u32 v30, s2, s12, v2
	s_delay_alu instid0(VALU_DEP_1)
	v_add_co_ci_u32_e64 v31, null, s13, 0, s2
	s_waitcnt lgkmcnt(0)
	s_and_b32 s20, s0, 0xffff
	s_and_b32 s0, s1, exec_lo
	v_add_lshl_u32 v7, v0, s20, 3
	v_mad_u64_u32 v[4:5], null, s20, 24, v[2:3]
	s_cselect_b32 s11, s7, 0
	s_cselect_b32 s10, s6, 0x10000
	s_delay_alu instid0(VALU_DEP_2) | instskip(NEXT) | instid1(VALU_DEP_1)
	v_add_co_u32 v32, s0, s18, v7
	v_add_co_ci_u32_e64 v33, null, s19, 0, s0
	v_add_co_u32 v34, s0, s16, v2
	s_delay_alu instid0(VALU_DEP_1) | instskip(SKIP_1) | instid1(VALU_DEP_1)
	v_add_co_ci_u32_e64 v35, null, s17, 0, s0
	v_add_co_u32 v36, s0, s16, v7
	v_add_co_ci_u32_e64 v37, null, s17, 0, s0
	v_add_co_u32 v38, s0, s18, v2
	s_delay_alu instid0(VALU_DEP_1) | instskip(SKIP_1) | instid1(VALU_DEP_1)
	v_add_co_ci_u32_e64 v39, null, s19, 0, s0
	v_add_co_u32 v40, s0, s12, v7
	v_add_co_ci_u32_e64 v41, null, s13, 0, s0
	v_add_co_u32 v42, vcc_lo, s14, v4
	v_add_co_u32 v44, s0, s14, v7
	v_add_co_ci_u32_e32 v43, vcc_lo, s15, v5, vcc_lo
	v_add_co_ci_u32_e64 v45, null, s15, 0, s0
	s_lshl_b32 s0, s20, 4
	v_add_co_u32 v46, vcc_lo, s12, v4
	v_add_co_u32 v2, s0, s0, v6
	v_add_co_ci_u32_e32 v47, vcc_lo, s13, v5, vcc_lo
	v_add_co_ci_u32_e64 v3, null, 0, 0, s0
	v_add_co_u32 v48, vcc_lo, s16, v4
	v_add_co_ci_u32_e32 v49, vcc_lo, s17, v5, vcc_lo
	v_add_co_u32 v50, vcc_lo, s18, v2
	s_delay_alu instid0(VALU_DEP_4)
	v_add_co_ci_u32_e32 v51, vcc_lo, s19, v3, vcc_lo
	v_add_co_u32 v52, vcc_lo, s18, v4
	v_or_b32_e32 v4, 4, v2
	v_add_co_ci_u32_e32 v53, vcc_lo, s19, v5, vcc_lo
	v_add_co_u32 v54, vcc_lo, s16, v2
	v_add_co_ci_u32_e32 v55, vcc_lo, s17, v3, vcc_lo
	s_delay_alu instid0(VALU_DEP_4)
	v_add_co_u32 v56, vcc_lo, s14, v4
	v_add_co_ci_u32_e32 v57, vcc_lo, s15, v3, vcc_lo
	v_add_co_u32 v58, vcc_lo, s12, v4
	v_add_co_ci_u32_e32 v59, vcc_lo, s13, v3, vcc_lo
	s_lshl_b32 s8, s20, 2
	s_lshl_b32 s21, s20, 1
	s_mul_i32 s22, s20, 3
	s_lshl_b32 s14, s20, 5
	s_mov_b64 s[12:13], s[8:9]
	s_branch .LBB3_25
.LBB3_24:                               ;   in Loop: Header=BB3_25 Depth=1
	s_or_b32 exec_lo, exec_lo, s0
	v_add_co_u32 v0, vcc_lo, v0, s8
	v_add_co_ci_u32_e32 v1, vcc_lo, 0, v1, vcc_lo
	v_add_co_u32 v28, vcc_lo, v28, s14
	v_add_co_ci_u32_e32 v29, vcc_lo, 0, v29, vcc_lo
	v_add_co_u32 v30, vcc_lo, v30, s14
	v_add_co_ci_u32_e32 v31, vcc_lo, 0, v31, vcc_lo
	v_add_co_u32 v32, vcc_lo, v32, s14
	v_add_co_ci_u32_e32 v33, vcc_lo, 0, v33, vcc_lo
	v_add_co_u32 v34, vcc_lo, v34, s14
	v_add_co_ci_u32_e32 v35, vcc_lo, 0, v35, vcc_lo
	v_add_co_u32 v36, vcc_lo, v36, s14
	v_add_co_ci_u32_e32 v37, vcc_lo, 0, v37, vcc_lo
	v_add_co_u32 v38, vcc_lo, v38, s14
	v_add_co_ci_u32_e32 v39, vcc_lo, 0, v39, vcc_lo
	v_add_co_u32 v40, vcc_lo, v40, s14
	v_add_co_ci_u32_e32 v41, vcc_lo, 0, v41, vcc_lo
	v_add_co_u32 v42, vcc_lo, v42, s14
	v_add_co_ci_u32_e32 v43, vcc_lo, 0, v43, vcc_lo
	v_add_co_u32 v44, vcc_lo, v44, s14
	v_add_co_ci_u32_e32 v45, vcc_lo, 0, v45, vcc_lo
	v_add_co_u32 v46, vcc_lo, v46, s14
	v_add_co_ci_u32_e32 v47, vcc_lo, 0, v47, vcc_lo
	v_add_co_u32 v48, vcc_lo, v48, s14
	v_add_co_ci_u32_e32 v49, vcc_lo, 0, v49, vcc_lo
	v_add_co_u32 v50, vcc_lo, v50, s14
	v_add_co_ci_u32_e32 v51, vcc_lo, 0, v51, vcc_lo
	v_add_co_u32 v52, vcc_lo, v52, s14
	v_add_co_ci_u32_e32 v53, vcc_lo, 0, v53, vcc_lo
	v_add_co_u32 v54, vcc_lo, v54, s14
	v_add_co_ci_u32_e32 v55, vcc_lo, 0, v55, vcc_lo
	v_cmp_ge_i64_e64 s0, s[12:13], s[6:7]
	v_cmp_lt_u64_e64 s1, 0xffff, s[12:13]
	v_add_co_u32 v56, vcc_lo, v56, s14
	v_add_co_ci_u32_e32 v57, vcc_lo, 0, v57, vcc_lo
	v_add_co_u32 v58, vcc_lo, v58, s14
	v_add_co_ci_u32_e32 v59, vcc_lo, 0, v59, vcc_lo
	s_or_b32 s0, s0, s1
	s_add_u32 s12, s12, s8
	s_addc_u32 s13, s13, 0
	s_and_b32 vcc_lo, exec_lo, s0
	s_cbranch_vccnz .LBB3_65
.LBB3_25:                               ; =>This Inner Loop Header: Depth=1
	v_cmp_gt_u64_e32 vcc_lo, s[10:11], v[0:1]
	v_dual_mov_b32 v25, 0 :: v_dual_mov_b32 v24, 0
	v_dual_mov_b32 v15, 0 :: v_dual_mov_b32 v14, 0
	s_and_saveexec_b32 s1, vcc_lo
	s_cbranch_execz .LBB3_27
; %bb.26:                               ;   in Loop: Header=BB3_25 Depth=1
	v_add_co_u32 v2, s0, v30, s4
	s_delay_alu instid0(VALU_DEP_1) | instskip(SKIP_1) | instid1(VALU_DEP_1)
	v_add_co_ci_u32_e64 v3, s0, s5, v31, s0
	v_add_co_u32 v4, s0, v28, s4
	v_add_co_ci_u32_e64 v5, s0, s5, v29, s0
	global_load_b64 v[14:15], v[2:3], off offset:-4
	global_load_b64 v[24:25], v[4:5], off offset:-4
.LBB3_27:                               ;   in Loop: Header=BB3_25 Depth=1
	s_or_b32 exec_lo, exec_lo, s1
	v_dual_mov_b32 v9, 0 :: v_dual_mov_b32 v26, 0
	v_mov_b32_e32 v27, 0
	s_and_saveexec_b32 s1, vcc_lo
	s_cbranch_execz .LBB3_29
; %bb.28:                               ;   in Loop: Header=BB3_25 Depth=1
	v_add_co_u32 v2, s0, v34, s4
	s_delay_alu instid0(VALU_DEP_1)
	v_add_co_ci_u32_e64 v3, s0, s5, v35, s0
	global_load_b64 v[26:27], v[2:3], off offset:-4
.LBB3_29:                               ;   in Loop: Header=BB3_25 Depth=1
	s_or_b32 exec_lo, exec_lo, s1
	v_add_co_u32 v2, s0, s20, v0
	s_delay_alu instid0(VALU_DEP_1) | instskip(SKIP_2) | instid1(VALU_DEP_3)
	v_add_co_ci_u32_e64 v3, s0, 0, v1, s0
	v_dual_mov_b32 v8, 0 :: v_dual_mov_b32 v13, 0
	v_mov_b32_e32 v12, 0
	v_cmp_gt_u64_e64 s0, s[10:11], v[2:3]
	s_delay_alu instid0(VALU_DEP_1)
	s_and_saveexec_b32 s2, s0
	s_cbranch_execz .LBB3_31
; %bb.30:                               ;   in Loop: Header=BB3_25 Depth=1
	v_add_co_u32 v2, s1, v40, s4
	s_delay_alu instid0(VALU_DEP_1) | instskip(SKIP_1) | instid1(VALU_DEP_1)
	v_add_co_ci_u32_e64 v3, s1, s5, v41, s1
	v_add_co_u32 v4, s1, v44, s4
	v_add_co_ci_u32_e64 v5, s1, s5, v45, s1
	global_load_b64 v[12:13], v[2:3], off
	global_load_b64 v[8:9], v[4:5], off
.LBB3_31:                               ;   in Loop: Header=BB3_25 Depth=1
	s_or_b32 exec_lo, exec_lo, s2
	v_dual_mov_b32 v5, 0 :: v_dual_mov_b32 v22, 0
	v_mov_b32_e32 v23, 0
	s_and_saveexec_b32 s2, s0
	s_cbranch_execz .LBB3_33
; %bb.32:                               ;   in Loop: Header=BB3_25 Depth=1
	v_add_co_u32 v2, s1, v36, s4
	s_delay_alu instid0(VALU_DEP_1)
	v_add_co_ci_u32_e64 v3, s1, s5, v37, s1
	global_load_b64 v[22:23], v[2:3], off
.LBB3_33:                               ;   in Loop: Header=BB3_25 Depth=1
	s_or_b32 exec_lo, exec_lo, s2
	v_add_co_u32 v2, s1, s21, v0
	s_delay_alu instid0(VALU_DEP_1) | instskip(SKIP_2) | instid1(VALU_DEP_3)
	v_add_co_ci_u32_e64 v3, s1, 0, v1, s1
	v_dual_mov_b32 v4, 0 :: v_dual_mov_b32 v11, 0
	v_mov_b32_e32 v10, 0
	v_cmp_gt_u64_e64 s1, s[10:11], v[2:3]
	s_delay_alu instid0(VALU_DEP_1)
	s_and_saveexec_b32 s3, s1
	s_cbranch_execz .LBB3_35
; %bb.34:                               ;   in Loop: Header=BB3_25 Depth=1
	v_add_co_u32 v2, s2, v58, s4
	s_delay_alu instid0(VALU_DEP_1) | instskip(SKIP_1) | instid1(VALU_DEP_1)
	v_add_co_ci_u32_e64 v3, s2, s5, v59, s2
	v_add_co_u32 v4, s2, v56, s4
	v_add_co_ci_u32_e64 v5, s2, s5, v57, s2
	global_load_b64 v[10:11], v[2:3], off offset:-4
	global_load_b64 v[4:5], v[4:5], off offset:-4
.LBB3_35:                               ;   in Loop: Header=BB3_25 Depth=1
	s_or_b32 exec_lo, exec_lo, s3
	v_dual_mov_b32 v3, 0 :: v_dual_mov_b32 v20, 0
	v_mov_b32_e32 v21, 0
	s_and_saveexec_b32 s3, s1
	s_cbranch_execz .LBB3_37
; %bb.36:                               ;   in Loop: Header=BB3_25 Depth=1
	v_add_co_u32 v6, s2, v54, s4
	s_delay_alu instid0(VALU_DEP_1)
	v_add_co_ci_u32_e64 v7, s2, s5, v55, s2
	global_load_b64 v[20:21], v[6:7], off
.LBB3_37:                               ;   in Loop: Header=BB3_25 Depth=1
	s_or_b32 exec_lo, exec_lo, s3
	v_add_co_u32 v6, s2, s22, v0
	s_delay_alu instid0(VALU_DEP_1) | instskip(SKIP_1) | instid1(VALU_DEP_2)
	v_add_co_ci_u32_e64 v7, s2, 0, v1, s2
	v_mov_b32_e32 v2, 0
	v_cmp_gt_u64_e64 s2, s[10:11], v[6:7]
	v_dual_mov_b32 v7, 0 :: v_dual_mov_b32 v6, 0
	s_delay_alu instid0(VALU_DEP_2)
	s_and_saveexec_b32 s9, s2
	s_cbranch_execz .LBB3_39
; %bb.38:                               ;   in Loop: Header=BB3_25 Depth=1
	v_add_co_u32 v2, s3, v46, s4
	s_delay_alu instid0(VALU_DEP_1) | instskip(SKIP_1) | instid1(VALU_DEP_1)
	v_add_co_ci_u32_e64 v3, s3, s5, v47, s3
	v_add_co_u32 v16, s3, v42, s4
	v_add_co_ci_u32_e64 v17, s3, s5, v43, s3
	global_load_b64 v[6:7], v[2:3], off offset:-4
	global_load_b64 v[2:3], v[16:17], off offset:-4
.LBB3_39:                               ;   in Loop: Header=BB3_25 Depth=1
	s_or_b32 exec_lo, exec_lo, s9
	v_dual_mov_b32 v17, 0 :: v_dual_mov_b32 v16, 0
	s_and_saveexec_b32 s9, s2
	s_cbranch_execz .LBB3_41
; %bb.40:                               ;   in Loop: Header=BB3_25 Depth=1
	v_add_co_u32 v16, s3, v48, s4
	s_delay_alu instid0(VALU_DEP_1)
	v_add_co_ci_u32_e64 v17, s3, s5, v49, s3
	global_load_b64 v[16:17], v[16:17], off offset:-4
.LBB3_41:                               ;   in Loop: Header=BB3_25 Depth=1
	s_or_b32 exec_lo, exec_lo, s9
	s_waitcnt vmcnt(0)
	v_dual_mul_f32 v18, v26, v26 :: v_dual_sub_f32 v61, v25, v15
	v_sub_f32_e32 v60, v24, v14
                                        ; implicit-def: $vgpr19
	s_delay_alu instid0(VALU_DEP_2) | instskip(NEXT) | instid1(VALU_DEP_1)
	v_fmac_f32_e32 v18, v27, v27
	v_cmp_ngt_f32_e64 s3, 0x3e800000, v18
	s_delay_alu instid0(VALU_DEP_1) | instskip(NEXT) | instid1(SALU_CYCLE_1)
	s_and_saveexec_b32 s9, s3
	s_xor_b32 s3, exec_lo, s9
; %bb.42:                               ;   in Loop: Header=BB3_25 Depth=1
	v_dual_sub_f32 v14, 1.0, v26 :: v_dual_sub_f32 v15, 0, v27
	v_mul_f32_e64 v18, v61, -v27
                                        ; implicit-def: $vgpr27
	s_delay_alu instid0(VALU_DEP_2) | instskip(NEXT) | instid1(VALU_DEP_2)
	v_mul_f32_e32 v19, v61, v14
                                        ; implicit-def: $vgpr61
	v_fma_f32 v14, v60, v14, -v18
	s_delay_alu instid0(VALU_DEP_2) | instskip(NEXT) | instid1(VALU_DEP_2)
	v_fmac_f32_e32 v19, v60, v15
                                        ; implicit-def: $vgpr60
	v_sub_f32_e32 v18, v24, v14
                                        ; implicit-def: $vgpr14
	s_delay_alu instid0(VALU_DEP_2)
	v_sub_f32_e32 v19, v25, v19
; %bb.43:                               ;   in Loop: Header=BB3_25 Depth=1
	s_and_not1_saveexec_b32 s3, s3
; %bb.44:                               ;   in Loop: Header=BB3_25 Depth=1
	v_mul_f32_e32 v18, v61, v27
	v_mul_f32_e32 v19, v61, v26
	s_delay_alu instid0(VALU_DEP_2) | instskip(NEXT) | instid1(VALU_DEP_1)
	v_fma_f32 v18, v60, v26, -v18
	v_dual_fmac_f32 v19, v60, v27 :: v_dual_add_f32 v18, v14, v18
	s_delay_alu instid0(VALU_DEP_1)
	v_add_f32_e32 v19, v15, v19
; %bb.45:                               ;   in Loop: Header=BB3_25 Depth=1
	s_or_b32 exec_lo, exec_lo, s3
	v_dual_mul_f32 v14, v22, v22 :: v_dual_sub_f32 v25, v9, v13
	v_sub_f32_e32 v24, v8, v12
                                        ; implicit-def: $vgpr15
	s_delay_alu instid0(VALU_DEP_2) | instskip(NEXT) | instid1(VALU_DEP_1)
	v_fmac_f32_e32 v14, v23, v23
	v_cmp_ngt_f32_e64 s3, 0x3e800000, v14
	s_delay_alu instid0(VALU_DEP_1) | instskip(NEXT) | instid1(SALU_CYCLE_1)
	s_and_saveexec_b32 s9, s3
	s_xor_b32 s3, exec_lo, s9
; %bb.46:                               ;   in Loop: Header=BB3_25 Depth=1
	v_dual_sub_f32 v12, 1.0, v22 :: v_dual_sub_f32 v13, 0, v23
	v_mul_f32_e64 v14, v25, -v23
                                        ; implicit-def: $vgpr23
	s_delay_alu instid0(VALU_DEP_2) | instskip(NEXT) | instid1(VALU_DEP_2)
	v_mul_f32_e32 v15, v25, v12
                                        ; implicit-def: $vgpr25
	v_fma_f32 v12, v24, v12, -v14
	s_delay_alu instid0(VALU_DEP_2) | instskip(NEXT) | instid1(VALU_DEP_2)
	v_fmac_f32_e32 v15, v24, v13
                                        ; implicit-def: $vgpr24
	v_sub_f32_e32 v14, v8, v12
                                        ; implicit-def: $vgpr12
	s_delay_alu instid0(VALU_DEP_2)
	v_sub_f32_e32 v15, v9, v15
; %bb.47:                               ;   in Loop: Header=BB3_25 Depth=1
	s_and_not1_saveexec_b32 s3, s3
; %bb.48:                               ;   in Loop: Header=BB3_25 Depth=1
	v_mul_f32_e32 v8, v25, v23
	s_delay_alu instid0(VALU_DEP_1) | instskip(NEXT) | instid1(VALU_DEP_1)
	v_fma_f32 v8, v24, v22, -v8
	v_dual_mul_f32 v9, v25, v22 :: v_dual_add_f32 v14, v12, v8
	s_delay_alu instid0(VALU_DEP_1) | instskip(NEXT) | instid1(VALU_DEP_1)
	v_fmac_f32_e32 v9, v24, v23
	v_add_f32_e32 v15, v13, v9
; %bb.49:                               ;   in Loop: Header=BB3_25 Depth=1
	s_or_b32 exec_lo, exec_lo, s3
	v_dual_mul_f32 v8, v20, v20 :: v_dual_sub_f32 v13, v5, v11
	v_sub_f32_e32 v12, v4, v10
                                        ; implicit-def: $vgpr9
	s_delay_alu instid0(VALU_DEP_2) | instskip(NEXT) | instid1(VALU_DEP_1)
	v_fmac_f32_e32 v8, v21, v21
	v_cmp_ngt_f32_e64 s3, 0x3e800000, v8
	s_delay_alu instid0(VALU_DEP_1) | instskip(NEXT) | instid1(SALU_CYCLE_1)
	s_and_saveexec_b32 s9, s3
	s_xor_b32 s3, exec_lo, s9
; %bb.50:                               ;   in Loop: Header=BB3_25 Depth=1
	v_dual_sub_f32 v8, 1.0, v20 :: v_dual_sub_f32 v9, 0, v21
	v_mul_f32_e64 v10, v13, -v21
                                        ; implicit-def: $vgpr21
	s_delay_alu instid0(VALU_DEP_2) | instskip(NEXT) | instid1(VALU_DEP_2)
	v_mul_f32_e32 v11, v13, v8
                                        ; implicit-def: $vgpr13
	v_fma_f32 v8, v12, v8, -v10
                                        ; implicit-def: $vgpr10
	s_delay_alu instid0(VALU_DEP_2) | instskip(NEXT) | instid1(VALU_DEP_1)
	v_fmac_f32_e32 v11, v12, v9
                                        ; implicit-def: $vgpr12
	v_dual_sub_f32 v8, v4, v8 :: v_dual_sub_f32 v9, v5, v11
; %bb.51:                               ;   in Loop: Header=BB3_25 Depth=1
	s_and_not1_saveexec_b32 s3, s3
; %bb.52:                               ;   in Loop: Header=BB3_25 Depth=1
	v_mul_f32_e32 v4, v13, v21
	v_mul_f32_e32 v5, v13, v20
	s_delay_alu instid0(VALU_DEP_2) | instskip(NEXT) | instid1(VALU_DEP_1)
	v_fma_f32 v4, v12, v20, -v4
	v_dual_fmac_f32 v5, v12, v21 :: v_dual_add_f32 v8, v10, v4
	s_delay_alu instid0(VALU_DEP_1)
	v_add_f32_e32 v9, v11, v5
; %bb.53:                               ;   in Loop: Header=BB3_25 Depth=1
	s_or_b32 exec_lo, exec_lo, s3
	v_dual_mul_f32 v4, v16, v16 :: v_dual_sub_f32 v11, v3, v7
	v_sub_f32_e32 v10, v2, v6
                                        ; implicit-def: $vgpr5
	s_delay_alu instid0(VALU_DEP_2) | instskip(NEXT) | instid1(VALU_DEP_1)
	v_fmac_f32_e32 v4, v17, v17
	v_cmp_ngt_f32_e64 s3, 0x3e800000, v4
	s_delay_alu instid0(VALU_DEP_1) | instskip(NEXT) | instid1(SALU_CYCLE_1)
	s_and_saveexec_b32 s9, s3
	s_xor_b32 s3, exec_lo, s9
	s_cbranch_execnz .LBB3_59
; %bb.54:                               ;   in Loop: Header=BB3_25 Depth=1
	s_and_not1_saveexec_b32 s3, s3
	s_cbranch_execnz .LBB3_60
.LBB3_55:                               ;   in Loop: Header=BB3_25 Depth=1
	s_or_b32 exec_lo, exec_lo, s3
	s_and_saveexec_b32 s3, vcc_lo
	s_delay_alu instid0(SALU_CYCLE_1)
	s_xor_b32 s3, exec_lo, s3
	s_cbranch_execnz .LBB3_61
.LBB3_56:                               ;   in Loop: Header=BB3_25 Depth=1
	s_or_b32 exec_lo, exec_lo, s3
	s_and_saveexec_b32 s3, s0
	s_cbranch_execnz .LBB3_62
.LBB3_57:                               ;   in Loop: Header=BB3_25 Depth=1
	s_or_b32 exec_lo, exec_lo, s3
	s_and_saveexec_b32 s0, s1
	s_cbranch_execnz .LBB3_63
.LBB3_58:                               ;   in Loop: Header=BB3_25 Depth=1
	s_or_b32 exec_lo, exec_lo, s0
	s_and_saveexec_b32 s0, s2
	s_cbranch_execz .LBB3_24
	s_branch .LBB3_64
.LBB3_59:                               ;   in Loop: Header=BB3_25 Depth=1
	v_dual_sub_f32 v4, 1.0, v16 :: v_dual_sub_f32 v5, 0, v17
	v_mul_f32_e64 v6, v11, -v17
                                        ; implicit-def: $vgpr17
	s_delay_alu instid0(VALU_DEP_2) | instskip(NEXT) | instid1(VALU_DEP_2)
	v_mul_f32_e32 v7, v11, v4
                                        ; implicit-def: $vgpr11
	v_fma_f32 v4, v10, v4, -v6
                                        ; implicit-def: $vgpr6
	s_delay_alu instid0(VALU_DEP_2) | instskip(NEXT) | instid1(VALU_DEP_1)
	v_fmac_f32_e32 v7, v10, v5
                                        ; implicit-def: $vgpr10
	v_dual_sub_f32 v4, v2, v4 :: v_dual_sub_f32 v5, v3, v7
	s_and_not1_saveexec_b32 s3, s3
	s_cbranch_execz .LBB3_55
.LBB3_60:                               ;   in Loop: Header=BB3_25 Depth=1
	v_mul_f32_e32 v2, v11, v17
	s_delay_alu instid0(VALU_DEP_1) | instskip(NEXT) | instid1(VALU_DEP_1)
	v_fma_f32 v2, v10, v16, -v2
	v_dual_mul_f32 v3, v11, v16 :: v_dual_add_f32 v4, v6, v2
	s_delay_alu instid0(VALU_DEP_1) | instskip(NEXT) | instid1(VALU_DEP_1)
	v_fmac_f32_e32 v3, v10, v17
	v_add_f32_e32 v5, v7, v3
	s_or_b32 exec_lo, exec_lo, s3
	s_and_saveexec_b32 s3, vcc_lo
	s_delay_alu instid0(SALU_CYCLE_1)
	s_xor_b32 s3, exec_lo, s3
	s_cbranch_execz .LBB3_56
.LBB3_61:                               ;   in Loop: Header=BB3_25 Depth=1
	v_add_co_u32 v2, vcc_lo, v38, s4
	v_add_co_ci_u32_e32 v3, vcc_lo, s5, v39, vcc_lo
	global_store_b64 v[2:3], v[18:19], off offset:-4
	s_or_b32 exec_lo, exec_lo, s3
	s_and_saveexec_b32 s3, s0
	s_cbranch_execz .LBB3_57
.LBB3_62:                               ;   in Loop: Header=BB3_25 Depth=1
	v_add_co_u32 v2, vcc_lo, v32, s4
	v_add_co_ci_u32_e32 v3, vcc_lo, s5, v33, vcc_lo
	global_store_b64 v[2:3], v[14:15], off
	s_or_b32 exec_lo, exec_lo, s3
	s_and_saveexec_b32 s0, s1
	s_cbranch_execz .LBB3_58
.LBB3_63:                               ;   in Loop: Header=BB3_25 Depth=1
	v_add_co_u32 v2, vcc_lo, v50, s4
	v_add_co_ci_u32_e32 v3, vcc_lo, s5, v51, vcc_lo
	global_store_b64 v[2:3], v[8:9], off
	s_or_b32 exec_lo, exec_lo, s0
	s_and_saveexec_b32 s0, s2
	s_cbranch_execz .LBB3_24
.LBB3_64:                               ;   in Loop: Header=BB3_25 Depth=1
	v_add_co_u32 v2, vcc_lo, v52, s4
	v_add_co_ci_u32_e32 v3, vcc_lo, s5, v53, vcc_lo
	global_store_b64 v[2:3], v[4:5], off offset:-4
	s_branch .LBB3_24
.LBB3_65:
	s_nop 0
	s_sendmsg sendmsg(MSG_DEALLOC_VGPRS)
	s_endpgm
	.section	.rodata,"a",@progbits
	.p2align	6, 0x0
	.amdhsa_kernel _ZN2at6native12_GLOBAL__N_125multi_tensor_apply_kernelINS1_18TensorListMetadataILi4EEENS1_20TernaryOpListFunctorIN3c107complexIfEELi4ELi3ELi3EEEJNS0_11LerpFunctorIS8_EEEEEvT_T0_DpT1_
		.amdhsa_group_segment_fixed_size 0
		.amdhsa_private_segment_fixed_size 0
		.amdhsa_kernarg_size 3312
		.amdhsa_user_sgpr_count 15
		.amdhsa_user_sgpr_dispatch_ptr 0
		.amdhsa_user_sgpr_queue_ptr 0
		.amdhsa_user_sgpr_kernarg_segment_ptr 1
		.amdhsa_user_sgpr_dispatch_id 0
		.amdhsa_user_sgpr_private_segment_size 0
		.amdhsa_wavefront_size32 1
		.amdhsa_uses_dynamic_stack 0
		.amdhsa_enable_private_segment 0
		.amdhsa_system_sgpr_workgroup_id_x 1
		.amdhsa_system_sgpr_workgroup_id_y 0
		.amdhsa_system_sgpr_workgroup_id_z 0
		.amdhsa_system_sgpr_workgroup_info 0
		.amdhsa_system_vgpr_workitem_id 0
		.amdhsa_next_free_vgpr 62
		.amdhsa_next_free_sgpr 30
		.amdhsa_reserve_vcc 1
		.amdhsa_float_round_mode_32 0
		.amdhsa_float_round_mode_16_64 0
		.amdhsa_float_denorm_mode_32 3
		.amdhsa_float_denorm_mode_16_64 3
		.amdhsa_dx10_clamp 1
		.amdhsa_ieee_mode 1
		.amdhsa_fp16_overflow 0
		.amdhsa_workgroup_processor_mode 1
		.amdhsa_memory_ordered 1
		.amdhsa_forward_progress 0
		.amdhsa_shared_vgpr_count 0
		.amdhsa_exception_fp_ieee_invalid_op 0
		.amdhsa_exception_fp_denorm_src 0
		.amdhsa_exception_fp_ieee_div_zero 0
		.amdhsa_exception_fp_ieee_overflow 0
		.amdhsa_exception_fp_ieee_underflow 0
		.amdhsa_exception_fp_ieee_inexact 0
		.amdhsa_exception_int_div_zero 0
	.end_amdhsa_kernel
	.section	.text._ZN2at6native12_GLOBAL__N_125multi_tensor_apply_kernelINS1_18TensorListMetadataILi4EEENS1_20TernaryOpListFunctorIN3c107complexIfEELi4ELi3ELi3EEEJNS0_11LerpFunctorIS8_EEEEEvT_T0_DpT1_,"axG",@progbits,_ZN2at6native12_GLOBAL__N_125multi_tensor_apply_kernelINS1_18TensorListMetadataILi4EEENS1_20TernaryOpListFunctorIN3c107complexIfEELi4ELi3ELi3EEEJNS0_11LerpFunctorIS8_EEEEEvT_T0_DpT1_,comdat
.Lfunc_end3:
	.size	_ZN2at6native12_GLOBAL__N_125multi_tensor_apply_kernelINS1_18TensorListMetadataILi4EEENS1_20TernaryOpListFunctorIN3c107complexIfEELi4ELi3ELi3EEEJNS0_11LerpFunctorIS8_EEEEEvT_T0_DpT1_, .Lfunc_end3-_ZN2at6native12_GLOBAL__N_125multi_tensor_apply_kernelINS1_18TensorListMetadataILi4EEENS1_20TernaryOpListFunctorIN3c107complexIfEELi4ELi3ELi3EEEJNS0_11LerpFunctorIS8_EEEEEvT_T0_DpT1_
                                        ; -- End function
	.section	.AMDGPU.csdata,"",@progbits
; Kernel info:
; codeLenInByte = 3160
; NumSgprs: 32
; NumVgprs: 62
; ScratchSize: 0
; MemoryBound: 1
; FloatMode: 240
; IeeeMode: 1
; LDSByteSize: 0 bytes/workgroup (compile time only)
; SGPRBlocks: 3
; VGPRBlocks: 7
; NumSGPRsForWavesPerEU: 32
; NumVGPRsForWavesPerEU: 62
; Occupancy: 16
; WaveLimiterHint : 0
; COMPUTE_PGM_RSRC2:SCRATCH_EN: 0
; COMPUTE_PGM_RSRC2:USER_SGPR: 15
; COMPUTE_PGM_RSRC2:TRAP_HANDLER: 0
; COMPUTE_PGM_RSRC2:TGID_X_EN: 1
; COMPUTE_PGM_RSRC2:TGID_Y_EN: 0
; COMPUTE_PGM_RSRC2:TGID_Z_EN: 0
; COMPUTE_PGM_RSRC2:TIDIG_COMP_CNT: 0
	.section	.text._ZN2at6native12_GLOBAL__N_125multi_tensor_apply_kernelINS1_18TensorListMetadataILi4EEENS1_20TernaryOpListFunctorIN3c104HalfELi4ELi3ELi3EEEJNS0_11LerpFunctorIfEEEEEvT_T0_DpT1_,"axG",@progbits,_ZN2at6native12_GLOBAL__N_125multi_tensor_apply_kernelINS1_18TensorListMetadataILi4EEENS1_20TernaryOpListFunctorIN3c104HalfELi4ELi3ELi3EEEJNS0_11LerpFunctorIfEEEEEvT_T0_DpT1_,comdat
	.globl	_ZN2at6native12_GLOBAL__N_125multi_tensor_apply_kernelINS1_18TensorListMetadataILi4EEENS1_20TernaryOpListFunctorIN3c104HalfELi4ELi3ELi3EEEJNS0_11LerpFunctorIfEEEEEvT_T0_DpT1_ ; -- Begin function _ZN2at6native12_GLOBAL__N_125multi_tensor_apply_kernelINS1_18TensorListMetadataILi4EEENS1_20TernaryOpListFunctorIN3c104HalfELi4ELi3ELi3EEEJNS0_11LerpFunctorIfEEEEEvT_T0_DpT1_
	.p2align	8
	.type	_ZN2at6native12_GLOBAL__N_125multi_tensor_apply_kernelINS1_18TensorListMetadataILi4EEENS1_20TernaryOpListFunctorIN3c104HalfELi4ELi3ELi3EEEJNS0_11LerpFunctorIfEEEEEvT_T0_DpT1_,@function
_ZN2at6native12_GLOBAL__N_125multi_tensor_apply_kernelINS1_18TensorListMetadataILi4EEENS1_20TernaryOpListFunctorIN3c104HalfELi4ELi3ELi3EEEJNS0_11LerpFunctorIfEEEEEvT_T0_DpT1_: ; @_ZN2at6native12_GLOBAL__N_125multi_tensor_apply_kernelINS1_18TensorListMetadataILi4EEENS1_20TernaryOpListFunctorIN3c104HalfELi4ELi3ELi3EEEJNS0_11LerpFunctorIfEEEEEvT_T0_DpT1_
; %bb.0:
	v_mov_b32_e32 v1, s15
	s_add_u32 s2, s0, s15
	s_mul_hi_u32 s3, s15, 3
	s_mul_i32 s15, s15, 3
	s_addc_u32 s4, s1, 0
	global_load_u8 v1, v1, s[0:1] offset:1440
	s_add_u32 s2, s2, s15
	s_addc_u32 s3, s4, s3
	s_mov_b32 s27, 0
	s_load_b32 s2, s[2:3], 0x6e0
	s_mov_b32 s7, s27
	s_mov_b32 s29, s27
	s_waitcnt vmcnt(0)
	v_readfirstlane_b32 s5, v1
	s_delay_alu instid0(VALU_DEP_1)
	s_lshl_b32 s3, s5, 3
	s_clause 0x4
	s_load_b64 s[10:11], s[0:1], s3 offset:0x0
	s_load_b64 s[12:13], s[0:1], s3 offset:0x120
	;; [unrolled: 1-line block ×5, first 2 shown]
	s_waitcnt lgkmcnt(0)
	s_ashr_i32 s3, s2, 31
	s_delay_alu instid0(SALU_CYCLE_1) | instskip(NEXT) | instid1(SALU_CYCLE_1)
	s_lshl_b64 s[4:5], s[2:3], 17
	s_add_u32 s8, s10, s4
	s_addc_u32 s9, s11, s5
	s_and_b32 s26, s8, 7
	s_add_u32 s18, s12, s4
	s_addc_u32 s19, s13, s5
	s_and_b32 s6, s18, 7
	s_delay_alu instid0(SALU_CYCLE_1)
	s_cmp_lg_u64 s[6:7], 0
	s_cselect_b32 s6, -1, 0
	s_add_u32 s20, s14, s4
	s_addc_u32 s21, s15, s5
	s_add_u32 s22, s16, s4
	s_addc_u32 s23, s17, s5
	s_or_b32 s7, s22, s20
	s_delay_alu instid0(SALU_CYCLE_1) | instskip(NEXT) | instid1(SALU_CYCLE_1)
	s_and_b32 s7, s7, 7
	s_cmp_lg_u32 s7, 0
	s_cselect_b32 s7, -1, 0
	s_lshl_b64 s[2:3], s[2:3], 16
	s_or_b32 s30, s7, s6
	s_sub_u32 s6, s24, s2
	s_subb_u32 s7, s25, s3
	s_and_b32 s28, s24, 3
	s_delay_alu instid0(SALU_CYCLE_1) | instskip(NEXT) | instid1(SALU_CYCLE_1)
	s_or_b64 s[2:3], s[26:27], s[28:29]
	s_cmp_lg_u64 s[2:3], 0
	s_cselect_b32 s2, -1, 0
	s_delay_alu instid0(SALU_CYCLE_1) | instskip(NEXT) | instid1(SALU_CYCLE_1)
	s_or_b32 s2, s30, s2
	s_and_not1_b32 vcc_lo, exec_lo, s2
	s_mov_b32 s2, -1
	s_cbranch_vccz .LBB4_5
; %bb.1:
	v_dual_mov_b32 v2, 0 :: v_dual_lshlrev_b32 v1, 2, v0
	s_mov_b32 s24, exec_lo
	s_delay_alu instid0(VALU_DEP_1)
	v_cmpx_gt_i64_e64 s[6:7], v[1:2]
	s_cbranch_execz .LBB4_4
; %bb.2:
	s_load_b32 s2, s[0:1], 0xbfc
	v_lshlrev_b32_e32 v3, 3, v0
	s_mov_b32 s25, 0
	s_waitcnt lgkmcnt(0)
	s_and_b32 s2, s2, 0xffff
	s_delay_alu instid0(SALU_CYCLE_1)
	v_add_lshl_u32 v1, v0, s2, 2
	s_lshl_b32 s26, s2, 2
	s_lshl_b32 s27, s2, 3
.LBB4_3:                                ; =>This Inner Loop Header: Depth=1
	v_add_co_u32 v4, s2, s8, v3
	s_delay_alu instid0(VALU_DEP_1) | instskip(SKIP_1) | instid1(VALU_DEP_1)
	v_add_co_ci_u32_e64 v5, null, s9, 0, s2
	v_add_co_u32 v6, s2, s18, v3
	v_add_co_ci_u32_e64 v7, null, s19, 0, s2
	v_add_co_u32 v8, s2, s20, v3
	s_delay_alu instid0(VALU_DEP_1)
	v_add_co_ci_u32_e64 v9, null, s21, 0, s2
	global_load_b64 v[4:5], v[4:5], off
	global_load_b64 v[6:7], v[6:7], off
	;; [unrolled: 1-line block ×3, first 2 shown]
	v_cmp_le_i64_e32 vcc_lo, s[6:7], v[1:2]
	v_cmp_lt_u64_e64 s2, 0xffff, v[1:2]
	v_add_co_u32 v10, s3, s22, v3
	s_delay_alu instid0(VALU_DEP_1) | instskip(SKIP_1) | instid1(VALU_DEP_1)
	v_add_co_ci_u32_e64 v11, null, s23, 0, s3
	v_add_co_u32 v1, s3, v1, s26
	v_add_co_ci_u32_e64 v2, s3, 0, v2, s3
	s_or_b32 s3, vcc_lo, s2
	s_add_u32 s8, s8, s27
	s_addc_u32 s9, s9, 0
	s_add_u32 s22, s22, s27
	s_addc_u32 s23, s23, 0
	;; [unrolled: 2-line block ×4, first 2 shown]
	s_waitcnt vmcnt(2)
	v_lshrrev_b32_e32 v12, 16, v4
	v_lshrrev_b32_e32 v13, 16, v5
	s_waitcnt vmcnt(1)
	v_lshrrev_b32_e32 v14, 16, v6
	v_lshrrev_b32_e32 v15, 16, v7
	;; [unrolled: 3-line block ×3, first 2 shown]
	v_cvt_f32_f16_e32 v18, v4
	v_cvt_f32_f16_e32 v19, v6
	;; [unrolled: 1-line block ×6, first 2 shown]
	s_delay_alu instid0(VALU_DEP_4)
	v_dual_sub_f32 v18, v19, v18 :: v_dual_sub_f32 v19, 1.0, v20
	v_cvt_f32_f16_e32 v12, v12
	v_cvt_f32_f16_e32 v14, v14
	;; [unrolled: 1-line block ×3, first 2 shown]
	v_dual_sub_f32 v21, v22, v21 :: v_dual_sub_f32 v22, 1.0, v23
	v_cvt_f32_f16_e32 v13, v13
	v_cvt_f32_f16_e32 v15, v15
	;; [unrolled: 1-line block ×3, first 2 shown]
	v_fma_mix_f32 v24, v18, v8, v4 op_sel_hi:[0,1,1]
	v_fma_mix_f32 v18, -v18, v19, v6 op_sel_hi:[0,0,1]
	s_delay_alu instid0(VALU_DEP_4) | instskip(NEXT) | instid1(VALU_DEP_4)
	v_dual_sub_f32 v12, v14, v12 :: v_dual_sub_f32 v13, v15, v13
	v_dual_sub_f32 v14, 1.0, v16 :: v_dual_sub_f32 v15, 1.0, v17
	v_fma_mix_f32 v19, v21, v9, v5 op_sel_hi:[0,1,1]
	v_fma_mix_f32 v21, -v21, v22, v7 op_sel_hi:[0,0,1]
	v_cmp_lt_f32_e64 vcc_lo, |v23|, 0.5
	v_cmp_lt_f32_e64 s2, |v20|, 0.5
	v_fma_mix_f32 v4, v12, v8, v4 op_sel:[0,1,1] op_sel_hi:[0,1,1]
	v_fma_mix_f32 v5, v13, v9, v5 op_sel:[0,1,1] op_sel_hi:[0,1,1]
	v_fma_mix_f32 v7, -v13, v15, v7 op_sel:[0,0,1] op_sel_hi:[0,0,1]
	v_fma_mix_f32 v6, -v12, v14, v6 op_sel:[0,0,1] op_sel_hi:[0,0,1]
	v_cndmask_b32_e64 v18, v18, v24, s2
	v_cmp_lt_f32_e64 s2, |v16|, 0.5
	v_cndmask_b32_e32 v8, v21, v19, vcc_lo
	v_cmp_lt_f32_e64 vcc_lo, |v17|, 0.5
	s_delay_alu instid0(VALU_DEP_3)
	v_cndmask_b32_e64 v4, v6, v4, s2
	v_cvt_f16_f32_e32 v6, v18
	v_cndmask_b32_e32 v5, v7, v5, vcc_lo
	v_cvt_f16_f32_e32 v7, v8
	s_and_b32 s2, exec_lo, s3
	v_cvt_f16_f32_e32 v4, v4
	s_or_b32 s25, s2, s25
	v_cvt_f16_f32_e32 v5, v5
	s_delay_alu instid0(VALU_DEP_2) | instskip(NEXT) | instid1(VALU_DEP_2)
	v_pack_b32_f16 v4, v6, v4
	v_pack_b32_f16 v5, v7, v5
	global_store_b64 v[10:11], v[4:5], off
	s_and_not1_b32 exec_lo, exec_lo, s25
	s_cbranch_execnz .LBB4_3
.LBB4_4:
	s_or_b32 exec_lo, exec_lo, s24
	s_mov_b32 s2, 0
.LBB4_5:
	s_delay_alu instid0(SALU_CYCLE_1)
	s_and_not1_b32 vcc_lo, exec_lo, s2
	s_cbranch_vccnz .LBB4_33
; %bb.6:
	v_cmp_lt_i64_e64 s2, s[6:7], 1
	s_delay_alu instid0(VALU_DEP_1)
	s_and_b32 vcc_lo, exec_lo, s2
	s_cbranch_vccnz .LBB4_33
; %bb.7:
	s_load_b32 s0, s[0:1], 0xbfc
	v_dual_mov_b32 v18, 0 :: v_dual_lshlrev_b32 v17, 1, v0
	v_cmp_gt_u64_e64 s1, 0x10000, s[6:7]
	s_delay_alu instid0(VALU_DEP_2) | instskip(NEXT) | instid1(VALU_DEP_1)
	v_add_co_u32 v1, s2, s10, v17
	v_add_co_ci_u32_e64 v2, null, s11, 0, s2
	v_add_co_u32 v3, s2, s12, v17
	s_delay_alu instid0(VALU_DEP_1) | instskip(SKIP_1) | instid1(VALU_DEP_1)
	v_add_co_ci_u32_e64 v4, null, s13, 0, s2
	v_add_co_u32 v5, s2, s14, v17
	v_add_co_ci_u32_e64 v6, null, s15, 0, s2
	v_add_co_u32 v7, s2, s16, v17
	s_waitcnt lgkmcnt(0)
	s_and_b32 s0, s0, 0xffff
	s_and_b32 s1, s1, exec_lo
	v_mad_u64_u32 v[15:16], null, s0, 6, v[17:18]
	v_add_co_ci_u32_e64 v8, null, s17, 0, s2
	s_cselect_b32 s9, s7, 0
	s_cselect_b32 s8, s6, 0x10000
	s_mul_i32 s2, s0, 3
	s_lshl_b32 s18, s0, 2
	s_delay_alu instid0(VALU_DEP_2) | instskip(NEXT) | instid1(VALU_DEP_3)
	v_add_co_u32 v9, vcc_lo, s10, v15
	v_add_co_ci_u32_e32 v10, vcc_lo, s11, v16, vcc_lo
	v_add_co_u32 v11, vcc_lo, s12, v15
	v_add_co_u32 v26, s3, s18, v17
	v_add_co_u32 v17, s2, s2, v0
	v_add_co_ci_u32_e32 v12, vcc_lo, s13, v16, vcc_lo
	v_add_co_ci_u32_e64 v18, null, 0, 0, s2
	v_add_co_u32 v25, s2, v0, s0
	v_add_co_u32 v13, vcc_lo, s14, v15
	v_add_co_ci_u32_e32 v14, vcc_lo, s15, v16, vcc_lo
	v_add_co_u32 v15, vcc_lo, s16, v15
	v_add_co_ci_u32_e64 v27, null, 0, 0, s3
	v_lshlrev_b32_e32 v37, 1, v25
	s_lshl_b32 s1, s0, 1
	v_add_co_ci_u32_e32 v16, vcc_lo, s17, v16, vcc_lo
	v_add_co_u32 v19, vcc_lo, s10, v26
	v_add_co_u32 v29, s1, s1, v0
	v_add_co_ci_u32_e32 v20, vcc_lo, s11, v27, vcc_lo
	v_add_co_u32 v21, vcc_lo, s12, v26
	v_add_co_ci_u32_e64 v30, null, 0, 0, s1
	v_add_co_u32 v31, s1, s10, v37
	v_add_co_ci_u32_e32 v22, vcc_lo, s13, v27, vcc_lo
	v_add_co_ci_u32_e64 v32, null, s11, 0, s1
	v_add_co_u32 v33, s1, s12, v37
	v_add_co_u32 v23, vcc_lo, s14, v26
	v_add_co_ci_u32_e64 v34, null, s13, 0, s1
	v_add_co_u32 v35, s1, s14, v37
	v_add_co_ci_u32_e32 v24, vcc_lo, s15, v27, vcc_lo
	v_add_co_u32 v26, vcc_lo, s16, v26
	v_add_co_ci_u32_e64 v36, null, s15, 0, s1
	v_add_co_u32 v37, s1, s16, v37
	v_add_co_ci_u32_e32 v27, vcc_lo, s17, v27, vcc_lo
	v_add_co_ci_u32_e64 v28, null, 0, 0, s2
	v_add_co_ci_u32_e64 v38, null, s17, 0, s1
	s_lshl_b32 s12, s0, 3
	s_mov_b64 s[10:11], 0
	s_branch .LBB4_9
.LBB4_8:                                ;   in Loop: Header=BB4_9 Depth=1
	s_or_b32 exec_lo, exec_lo, s0
	v_add_co_u32 v1, vcc_lo, v1, s12
	v_add_co_ci_u32_e32 v2, vcc_lo, 0, v2, vcc_lo
	v_add_co_u32 v3, vcc_lo, v3, s12
	v_add_co_ci_u32_e32 v4, vcc_lo, 0, v4, vcc_lo
	;; [unrolled: 2-line block ×13, first 2 shown]
	s_add_u32 s10, s10, s18
	v_add_co_u32 v33, vcc_lo, v33, s12
	s_addc_u32 s11, s11, 0
	v_add_co_ci_u32_e32 v34, vcc_lo, 0, v34, vcc_lo
	v_cmp_ge_i64_e64 s0, s[10:11], s[6:7]
	v_cmp_lt_u64_e64 s1, 0xffff, s[10:11]
	v_add_co_u32 v35, vcc_lo, v35, s12
	v_add_co_ci_u32_e32 v36, vcc_lo, 0, v36, vcc_lo
	v_add_co_u32 v37, vcc_lo, v37, s12
	v_add_co_ci_u32_e32 v38, vcc_lo, 0, v38, vcc_lo
	s_or_b32 s0, s0, s1
	s_delay_alu instid0(SALU_CYCLE_1)
	s_and_b32 vcc_lo, exec_lo, s0
	s_cbranch_vccnz .LBB4_33
.LBB4_9:                                ; =>This Inner Loop Header: Depth=1
	s_waitcnt vmcnt(1)
	v_add_co_u32 v39, s0, v0, s10
	s_waitcnt vmcnt(0)
	v_add_co_ci_u32_e64 v40, null, 0, s11, s0
	s_delay_alu instid0(VALU_DEP_1)
	v_cmp_gt_u64_e32 vcc_lo, s[8:9], v[39:40]
	v_dual_mov_b32 v39, 0 :: v_dual_mov_b32 v40, 0
	s_and_saveexec_b32 s1, vcc_lo
	s_cbranch_execz .LBB4_11
; %bb.10:                               ;   in Loop: Header=BB4_9 Depth=1
	v_add_co_u32 v39, s0, v1, s4
	s_delay_alu instid0(VALU_DEP_1) | instskip(SKIP_1) | instid1(VALU_DEP_1)
	v_add_co_ci_u32_e64 v40, s0, s5, v2, s0
	v_add_co_u32 v41, s0, v3, s4
	v_add_co_ci_u32_e64 v42, s0, s5, v4, s0
	global_load_u16 v39, v[39:40], off
	global_load_u16 v40, v[41:42], off
.LBB4_11:                               ;   in Loop: Header=BB4_9 Depth=1
	s_or_b32 exec_lo, exec_lo, s1
	v_dual_mov_b32 v41, 0 :: v_dual_mov_b32 v42, 0
	s_and_saveexec_b32 s1, vcc_lo
	s_cbranch_execz .LBB4_13
; %bb.12:                               ;   in Loop: Header=BB4_9 Depth=1
	v_add_co_u32 v42, s0, v5, s4
	s_delay_alu instid0(VALU_DEP_1)
	v_add_co_ci_u32_e64 v43, s0, s5, v6, s0
	global_load_u16 v42, v[42:43], off
.LBB4_13:                               ;   in Loop: Header=BB4_9 Depth=1
	s_or_b32 exec_lo, exec_lo, s1
	v_add_co_u32 v43, s0, v25, s10
	s_delay_alu instid0(VALU_DEP_1) | instskip(NEXT) | instid1(VALU_DEP_1)
	v_add_co_ci_u32_e64 v44, s0, s11, v28, s0
	v_cmp_gt_u64_e64 s0, s[8:9], v[43:44]
	v_mov_b32_e32 v43, 0
	s_delay_alu instid0(VALU_DEP_2)
	s_and_saveexec_b32 s2, s0
	s_cbranch_execz .LBB4_15
; %bb.14:                               ;   in Loop: Header=BB4_9 Depth=1
	v_add_co_u32 v43, s1, v31, s4
	s_delay_alu instid0(VALU_DEP_1) | instskip(SKIP_1) | instid1(VALU_DEP_1)
	v_add_co_ci_u32_e64 v44, s1, s5, v32, s1
	v_add_co_u32 v45, s1, v33, s4
	v_add_co_ci_u32_e64 v46, s1, s5, v34, s1
	global_load_u16 v41, v[43:44], off
	global_load_u16 v43, v[45:46], off
.LBB4_15:                               ;   in Loop: Header=BB4_9 Depth=1
	s_or_b32 exec_lo, exec_lo, s2
	v_dual_mov_b32 v44, 0 :: v_dual_mov_b32 v45, 0
	s_and_saveexec_b32 s2, s0
	s_cbranch_execz .LBB4_17
; %bb.16:                               ;   in Loop: Header=BB4_9 Depth=1
	v_add_co_u32 v45, s1, v35, s4
	s_delay_alu instid0(VALU_DEP_1)
	v_add_co_ci_u32_e64 v46, s1, s5, v36, s1
	global_load_u16 v45, v[45:46], off
.LBB4_17:                               ;   in Loop: Header=BB4_9 Depth=1
	s_or_b32 exec_lo, exec_lo, s2
	v_add_co_u32 v46, s1, v29, s10
	s_delay_alu instid0(VALU_DEP_1) | instskip(NEXT) | instid1(VALU_DEP_1)
	v_add_co_ci_u32_e64 v47, s1, s11, v30, s1
	v_cmp_gt_u64_e64 s1, s[8:9], v[46:47]
	v_mov_b32_e32 v46, 0
	s_delay_alu instid0(VALU_DEP_2)
	s_and_saveexec_b32 s3, s1
	s_cbranch_execz .LBB4_19
; %bb.18:                               ;   in Loop: Header=BB4_9 Depth=1
	v_add_co_u32 v46, s2, v19, s4
	s_delay_alu instid0(VALU_DEP_1) | instskip(SKIP_1) | instid1(VALU_DEP_1)
	v_add_co_ci_u32_e64 v47, s2, s5, v20, s2
	v_add_co_u32 v48, s2, v21, s4
	v_add_co_ci_u32_e64 v49, s2, s5, v22, s2
	global_load_u16 v44, v[46:47], off
	global_load_u16 v46, v[48:49], off
.LBB4_19:                               ;   in Loop: Header=BB4_9 Depth=1
	s_or_b32 exec_lo, exec_lo, s3
	v_dual_mov_b32 v47, 0 :: v_dual_mov_b32 v48, 0
	s_and_saveexec_b32 s3, s1
	s_cbranch_execz .LBB4_21
; %bb.20:                               ;   in Loop: Header=BB4_9 Depth=1
	v_add_co_u32 v48, s2, v23, s4
	s_delay_alu instid0(VALU_DEP_1)
	v_add_co_ci_u32_e64 v49, s2, s5, v24, s2
	global_load_u16 v48, v[48:49], off
.LBB4_21:                               ;   in Loop: Header=BB4_9 Depth=1
	s_or_b32 exec_lo, exec_lo, s3
	v_add_co_u32 v49, s2, v17, s10
	s_delay_alu instid0(VALU_DEP_1) | instskip(NEXT) | instid1(VALU_DEP_1)
	v_add_co_ci_u32_e64 v50, s2, s11, v18, s2
	v_cmp_gt_u64_e64 s2, s[8:9], v[49:50]
	v_mov_b32_e32 v49, 0
	s_delay_alu instid0(VALU_DEP_2)
	s_and_saveexec_b32 s13, s2
	s_cbranch_execnz .LBB4_27
; %bb.22:                               ;   in Loop: Header=BB4_9 Depth=1
	s_or_b32 exec_lo, exec_lo, s13
	v_mov_b32_e32 v50, 0
	s_and_saveexec_b32 s13, s2
	s_cbranch_execnz .LBB4_28
.LBB4_23:                               ;   in Loop: Header=BB4_9 Depth=1
	s_or_b32 exec_lo, exec_lo, s13
	s_and_saveexec_b32 s3, vcc_lo
	s_cbranch_execnz .LBB4_29
.LBB4_24:                               ;   in Loop: Header=BB4_9 Depth=1
	s_or_b32 exec_lo, exec_lo, s3
	s_and_saveexec_b32 s3, s0
	s_cbranch_execnz .LBB4_30
.LBB4_25:                               ;   in Loop: Header=BB4_9 Depth=1
	s_or_b32 exec_lo, exec_lo, s3
	s_and_saveexec_b32 s0, s1
	s_cbranch_execnz .LBB4_31
.LBB4_26:                               ;   in Loop: Header=BB4_9 Depth=1
	s_or_b32 exec_lo, exec_lo, s0
	s_and_saveexec_b32 s0, s2
	s_cbranch_execz .LBB4_8
	s_branch .LBB4_32
.LBB4_27:                               ;   in Loop: Header=BB4_9 Depth=1
	v_add_co_u32 v49, s3, v9, s4
	s_delay_alu instid0(VALU_DEP_1) | instskip(SKIP_1) | instid1(VALU_DEP_1)
	v_add_co_ci_u32_e64 v50, s3, s5, v10, s3
	v_add_co_u32 v51, s3, v11, s4
	v_add_co_ci_u32_e64 v52, s3, s5, v12, s3
	global_load_u16 v47, v[49:50], off
	global_load_u16 v49, v[51:52], off
	s_or_b32 exec_lo, exec_lo, s13
	v_mov_b32_e32 v50, 0
	s_and_saveexec_b32 s13, s2
	s_cbranch_execz .LBB4_23
.LBB4_28:                               ;   in Loop: Header=BB4_9 Depth=1
	v_add_co_u32 v50, s3, v13, s4
	s_delay_alu instid0(VALU_DEP_1)
	v_add_co_ci_u32_e64 v51, s3, s5, v14, s3
	global_load_u16 v50, v[50:51], off
	s_or_b32 exec_lo, exec_lo, s13
	s_and_saveexec_b32 s3, vcc_lo
	s_cbranch_execz .LBB4_24
.LBB4_29:                               ;   in Loop: Header=BB4_9 Depth=1
	s_waitcnt vmcnt(0)
	v_cvt_f32_f16_e32 v51, v40
	v_cvt_f32_f16_e32 v52, v39
	;; [unrolled: 1-line block ×3, first 2 shown]
	s_delay_alu instid0(VALU_DEP_1) | instskip(SKIP_1) | instid1(VALU_DEP_2)
	v_dual_sub_f32 v51, v51, v52 :: v_dual_sub_f32 v52, 1.0, v53
	v_cmp_lt_f32_e64 vcc_lo, |v53|, 0.5
	v_fma_mix_f32 v39, v51, v42, v39 op_sel_hi:[0,1,1]
	s_delay_alu instid0(VALU_DEP_3) | instskip(NEXT) | instid1(VALU_DEP_1)
	v_fma_mix_f32 v40, -v51, v52, v40 op_sel_hi:[0,0,1]
	v_cndmask_b32_e32 v39, v40, v39, vcc_lo
	s_delay_alu instid0(VALU_DEP_1)
	v_cvt_f16_f32_e32 v42, v39
	v_add_co_u32 v39, vcc_lo, v7, s4
	v_add_co_ci_u32_e32 v40, vcc_lo, s5, v8, vcc_lo
	global_store_b16 v[39:40], v42, off
	s_or_b32 exec_lo, exec_lo, s3
	s_and_saveexec_b32 s3, s0
	s_cbranch_execz .LBB4_25
.LBB4_30:                               ;   in Loop: Header=BB4_9 Depth=1
	s_waitcnt vmcnt(1)
	v_cvt_f32_f16_e32 v39, v41
	s_waitcnt vmcnt(0)
	v_cvt_f32_f16_e32 v40, v43
	v_cvt_f32_f16_e32 v42, v45
	s_delay_alu instid0(VALU_DEP_1) | instskip(SKIP_1) | instid1(VALU_DEP_2)
	v_dual_sub_f32 v39, v40, v39 :: v_dual_sub_f32 v40, 1.0, v42
	v_cmp_lt_f32_e64 vcc_lo, |v42|, 0.5
	v_fma_mix_f32 v41, v39, v45, v41 op_sel_hi:[0,1,1]
	s_delay_alu instid0(VALU_DEP_3) | instskip(NEXT) | instid1(VALU_DEP_1)
	v_fma_mix_f32 v39, -v39, v40, v43 op_sel_hi:[0,0,1]
	v_cndmask_b32_e32 v39, v39, v41, vcc_lo
	s_delay_alu instid0(VALU_DEP_1)
	v_cvt_f16_f32_e32 v41, v39
	v_add_co_u32 v39, vcc_lo, v37, s4
	v_add_co_ci_u32_e32 v40, vcc_lo, s5, v38, vcc_lo
	global_store_b16 v[39:40], v41, off
	s_or_b32 exec_lo, exec_lo, s3
	s_and_saveexec_b32 s0, s1
	s_cbranch_execz .LBB4_26
.LBB4_31:                               ;   in Loop: Header=BB4_9 Depth=1
	s_waitcnt vmcnt(1)
	v_cvt_f32_f16_e32 v39, v44
	s_waitcnt vmcnt(0)
	v_cvt_f32_f16_e32 v40, v46
	v_cvt_f32_f16_e32 v41, v48
	s_delay_alu instid0(VALU_DEP_1) | instskip(SKIP_1) | instid1(VALU_DEP_2)
	v_dual_sub_f32 v39, v40, v39 :: v_dual_sub_f32 v40, 1.0, v41
	v_cmp_lt_f32_e64 vcc_lo, |v41|, 0.5
	v_fma_mix_f32 v42, v39, v48, v44 op_sel_hi:[0,1,1]
	s_delay_alu instid0(VALU_DEP_3) | instskip(NEXT) | instid1(VALU_DEP_1)
	v_fma_mix_f32 v39, -v39, v40, v46 op_sel_hi:[0,0,1]
	v_cndmask_b32_e32 v39, v39, v42, vcc_lo
	s_delay_alu instid0(VALU_DEP_1)
	v_cvt_f16_f32_e32 v41, v39
	v_add_co_u32 v39, vcc_lo, v26, s4
	v_add_co_ci_u32_e32 v40, vcc_lo, s5, v27, vcc_lo
	global_store_b16 v[39:40], v41, off
	s_or_b32 exec_lo, exec_lo, s0
	s_and_saveexec_b32 s0, s2
	s_cbranch_execz .LBB4_8
.LBB4_32:                               ;   in Loop: Header=BB4_9 Depth=1
	s_waitcnt vmcnt(1)
	v_cvt_f32_f16_e32 v39, v47
	s_waitcnt vmcnt(0)
	v_cvt_f32_f16_e32 v40, v49
	v_cvt_f32_f16_e32 v41, v50
	s_delay_alu instid0(VALU_DEP_1) | instskip(SKIP_1) | instid1(VALU_DEP_2)
	v_dual_sub_f32 v39, v40, v39 :: v_dual_sub_f32 v40, 1.0, v41
	v_cmp_lt_f32_e64 vcc_lo, |v41|, 0.5
	v_fma_mix_f32 v42, v39, v50, v47 op_sel_hi:[0,1,1]
	s_delay_alu instid0(VALU_DEP_3) | instskip(NEXT) | instid1(VALU_DEP_1)
	v_fma_mix_f32 v39, -v39, v40, v49 op_sel_hi:[0,0,1]
	v_cndmask_b32_e32 v39, v39, v42, vcc_lo
	s_delay_alu instid0(VALU_DEP_1)
	v_cvt_f16_f32_e32 v41, v39
	v_add_co_u32 v39, vcc_lo, v15, s4
	v_add_co_ci_u32_e32 v40, vcc_lo, s5, v16, vcc_lo
	global_store_b16 v[39:40], v41, off
	s_branch .LBB4_8
.LBB4_33:
	s_nop 0
	s_sendmsg sendmsg(MSG_DEALLOC_VGPRS)
	s_endpgm
	.section	.rodata,"a",@progbits
	.p2align	6, 0x0
	.amdhsa_kernel _ZN2at6native12_GLOBAL__N_125multi_tensor_apply_kernelINS1_18TensorListMetadataILi4EEENS1_20TernaryOpListFunctorIN3c104HalfELi4ELi3ELi3EEEJNS0_11LerpFunctorIfEEEEEvT_T0_DpT1_
		.amdhsa_group_segment_fixed_size 0
		.amdhsa_private_segment_fixed_size 0
		.amdhsa_kernarg_size 3312
		.amdhsa_user_sgpr_count 15
		.amdhsa_user_sgpr_dispatch_ptr 0
		.amdhsa_user_sgpr_queue_ptr 0
		.amdhsa_user_sgpr_kernarg_segment_ptr 1
		.amdhsa_user_sgpr_dispatch_id 0
		.amdhsa_user_sgpr_private_segment_size 0
		.amdhsa_wavefront_size32 1
		.amdhsa_uses_dynamic_stack 0
		.amdhsa_enable_private_segment 0
		.amdhsa_system_sgpr_workgroup_id_x 1
		.amdhsa_system_sgpr_workgroup_id_y 0
		.amdhsa_system_sgpr_workgroup_id_z 0
		.amdhsa_system_sgpr_workgroup_info 0
		.amdhsa_system_vgpr_workitem_id 0
		.amdhsa_next_free_vgpr 54
		.amdhsa_next_free_sgpr 31
		.amdhsa_reserve_vcc 1
		.amdhsa_float_round_mode_32 0
		.amdhsa_float_round_mode_16_64 0
		.amdhsa_float_denorm_mode_32 3
		.amdhsa_float_denorm_mode_16_64 3
		.amdhsa_dx10_clamp 1
		.amdhsa_ieee_mode 1
		.amdhsa_fp16_overflow 0
		.amdhsa_workgroup_processor_mode 1
		.amdhsa_memory_ordered 1
		.amdhsa_forward_progress 0
		.amdhsa_shared_vgpr_count 0
		.amdhsa_exception_fp_ieee_invalid_op 0
		.amdhsa_exception_fp_denorm_src 0
		.amdhsa_exception_fp_ieee_div_zero 0
		.amdhsa_exception_fp_ieee_overflow 0
		.amdhsa_exception_fp_ieee_underflow 0
		.amdhsa_exception_fp_ieee_inexact 0
		.amdhsa_exception_int_div_zero 0
	.end_amdhsa_kernel
	.section	.text._ZN2at6native12_GLOBAL__N_125multi_tensor_apply_kernelINS1_18TensorListMetadataILi4EEENS1_20TernaryOpListFunctorIN3c104HalfELi4ELi3ELi3EEEJNS0_11LerpFunctorIfEEEEEvT_T0_DpT1_,"axG",@progbits,_ZN2at6native12_GLOBAL__N_125multi_tensor_apply_kernelINS1_18TensorListMetadataILi4EEENS1_20TernaryOpListFunctorIN3c104HalfELi4ELi3ELi3EEEJNS0_11LerpFunctorIfEEEEEvT_T0_DpT1_,comdat
.Lfunc_end4:
	.size	_ZN2at6native12_GLOBAL__N_125multi_tensor_apply_kernelINS1_18TensorListMetadataILi4EEENS1_20TernaryOpListFunctorIN3c104HalfELi4ELi3ELi3EEEJNS0_11LerpFunctorIfEEEEEvT_T0_DpT1_, .Lfunc_end4-_ZN2at6native12_GLOBAL__N_125multi_tensor_apply_kernelINS1_18TensorListMetadataILi4EEENS1_20TernaryOpListFunctorIN3c104HalfELi4ELi3ELi3EEEJNS0_11LerpFunctorIfEEEEEvT_T0_DpT1_
                                        ; -- End function
	.section	.AMDGPU.csdata,"",@progbits
; Kernel info:
; codeLenInByte = 2568
; NumSgprs: 33
; NumVgprs: 54
; ScratchSize: 0
; MemoryBound: 0
; FloatMode: 240
; IeeeMode: 1
; LDSByteSize: 0 bytes/workgroup (compile time only)
; SGPRBlocks: 4
; VGPRBlocks: 6
; NumSGPRsForWavesPerEU: 33
; NumVGPRsForWavesPerEU: 54
; Occupancy: 16
; WaveLimiterHint : 0
; COMPUTE_PGM_RSRC2:SCRATCH_EN: 0
; COMPUTE_PGM_RSRC2:USER_SGPR: 15
; COMPUTE_PGM_RSRC2:TRAP_HANDLER: 0
; COMPUTE_PGM_RSRC2:TGID_X_EN: 1
; COMPUTE_PGM_RSRC2:TGID_Y_EN: 0
; COMPUTE_PGM_RSRC2:TGID_Z_EN: 0
; COMPUTE_PGM_RSRC2:TIDIG_COMP_CNT: 0
	.section	.text._ZN2at6native12_GLOBAL__N_125multi_tensor_apply_kernelINS1_18TensorListMetadataILi4EEENS1_20TernaryOpListFunctorIN3c108BFloat16ELi4ELi3ELi3EEEJNS0_11LerpFunctorIfEEEEEvT_T0_DpT1_,"axG",@progbits,_ZN2at6native12_GLOBAL__N_125multi_tensor_apply_kernelINS1_18TensorListMetadataILi4EEENS1_20TernaryOpListFunctorIN3c108BFloat16ELi4ELi3ELi3EEEJNS0_11LerpFunctorIfEEEEEvT_T0_DpT1_,comdat
	.globl	_ZN2at6native12_GLOBAL__N_125multi_tensor_apply_kernelINS1_18TensorListMetadataILi4EEENS1_20TernaryOpListFunctorIN3c108BFloat16ELi4ELi3ELi3EEEJNS0_11LerpFunctorIfEEEEEvT_T0_DpT1_ ; -- Begin function _ZN2at6native12_GLOBAL__N_125multi_tensor_apply_kernelINS1_18TensorListMetadataILi4EEENS1_20TernaryOpListFunctorIN3c108BFloat16ELi4ELi3ELi3EEEJNS0_11LerpFunctorIfEEEEEvT_T0_DpT1_
	.p2align	8
	.type	_ZN2at6native12_GLOBAL__N_125multi_tensor_apply_kernelINS1_18TensorListMetadataILi4EEENS1_20TernaryOpListFunctorIN3c108BFloat16ELi4ELi3ELi3EEEJNS0_11LerpFunctorIfEEEEEvT_T0_DpT1_,@function
_ZN2at6native12_GLOBAL__N_125multi_tensor_apply_kernelINS1_18TensorListMetadataILi4EEENS1_20TernaryOpListFunctorIN3c108BFloat16ELi4ELi3ELi3EEEJNS0_11LerpFunctorIfEEEEEvT_T0_DpT1_: ; @_ZN2at6native12_GLOBAL__N_125multi_tensor_apply_kernelINS1_18TensorListMetadataILi4EEENS1_20TernaryOpListFunctorIN3c108BFloat16ELi4ELi3ELi3EEEJNS0_11LerpFunctorIfEEEEEvT_T0_DpT1_
; %bb.0:
	v_mov_b32_e32 v1, s15
	s_add_u32 s2, s0, s15
	s_mul_hi_u32 s3, s15, 3
	s_mul_i32 s15, s15, 3
	s_addc_u32 s4, s1, 0
	global_load_u8 v1, v1, s[0:1] offset:1440
	s_add_u32 s2, s2, s15
	s_addc_u32 s3, s4, s3
	s_mov_b32 s7, 0
	s_load_b32 s2, s[2:3], 0x6e0
	s_mov_b32 s11, s7
	s_mov_b32 s21, s7
	s_waitcnt vmcnt(0)
	v_readfirstlane_b32 s5, v1
	s_delay_alu instid0(VALU_DEP_1)
	s_lshl_b32 s3, s5, 3
	s_clause 0x4
	s_load_b64 s[12:13], s[0:1], s3 offset:0x120
	s_load_b64 s[18:19], s[0:1], s3 offset:0x0
	;; [unrolled: 1-line block ×5, first 2 shown]
	s_waitcnt lgkmcnt(0)
	s_ashr_i32 s3, s2, 31
	s_delay_alu instid0(SALU_CYCLE_1) | instskip(NEXT) | instid1(SALU_CYCLE_1)
	s_lshl_b64 s[8:9], s[2:3], 17
	s_add_u32 s6, s12, s8
	s_delay_alu instid0(SALU_CYCLE_1) | instskip(SKIP_4) | instid1(SALU_CYCLE_1)
	s_and_b32 s10, s6, 7
	s_and_b32 s6, s18, 7
	s_cmp_lg_u64 s[10:11], 0
	s_cselect_b32 s10, -1, 0
	s_add_u32 s11, s16, s8
	s_or_b32 s11, s14, s11
	s_delay_alu instid0(SALU_CYCLE_1) | instskip(NEXT) | instid1(SALU_CYCLE_1)
	s_and_b32 s11, s11, 7
	s_cmp_lg_u32 s11, 0
	s_cselect_b32 s11, -1, 0
	s_lshl_b64 s[2:3], s[2:3], 16
	s_or_b32 s22, s11, s10
	s_sub_u32 s10, s4, s2
	s_subb_u32 s11, s5, s3
	s_and_b32 s20, s4, 3
	s_delay_alu instid0(SALU_CYCLE_1) | instskip(NEXT) | instid1(SALU_CYCLE_1)
	s_or_b64 s[2:3], s[6:7], s[20:21]
	s_cmp_lg_u64 s[2:3], 0
	s_cselect_b32 s2, -1, 0
	s_delay_alu instid0(SALU_CYCLE_1) | instskip(NEXT) | instid1(SALU_CYCLE_1)
	s_or_b32 s2, s22, s2
	s_and_not1_b32 vcc_lo, exec_lo, s2
	s_mov_b32 s2, -1
	s_cbranch_vccz .LBB5_5
; %bb.1:
	v_dual_mov_b32 v2, 0 :: v_dual_lshlrev_b32 v1, 2, v0
	s_mov_b32 s7, exec_lo
	s_delay_alu instid0(VALU_DEP_1)
	v_cmpx_gt_i64_e64 s[10:11], v[1:2]
	s_cbranch_execz .LBB5_4
; %bb.2:
	s_load_b32 s2, s[0:1], 0xbfc
	v_lshlrev_b32_e32 v1, 3, v0
	s_mov_b32 s20, 0
	s_delay_alu instid0(VALU_DEP_1) | instskip(NEXT) | instid1(VALU_DEP_1)
	v_add_co_u32 v3, s3, s8, v1
	v_add_co_ci_u32_e64 v4, null, s9, 0, s3
	s_waitcnt lgkmcnt(0)
	s_and_b32 s2, s2, 0xffff
	s_delay_alu instid0(SALU_CYCLE_1)
	v_add_lshl_u32 v1, v0, s2, 2
	s_lshl_b32 s21, s2, 3
	s_lshl_b32 s22, s2, 2
.LBB5_3:                                ; =>This Inner Loop Header: Depth=1
	v_add_co_u32 v5, vcc_lo, s18, v3
	v_add_co_ci_u32_e32 v6, vcc_lo, s19, v4, vcc_lo
	v_add_co_u32 v7, vcc_lo, s12, v3
	v_add_co_ci_u32_e32 v8, vcc_lo, s13, v4, vcc_lo
	;; [unrolled: 2-line block ×3, first 2 shown]
	global_load_b64 v[5:6], v[5:6], off
	global_load_b64 v[7:8], v[7:8], off
	;; [unrolled: 1-line block ×3, first 2 shown]
	v_add_co_u32 v11, vcc_lo, s14, v3
	v_add_co_ci_u32_e32 v12, vcc_lo, s15, v4, vcc_lo
	v_cmp_le_i64_e32 vcc_lo, s[10:11], v[1:2]
	v_cmp_lt_u64_e64 s2, 0xffff, v[1:2]
	v_add_co_u32 v3, s3, v3, s21
	s_delay_alu instid0(VALU_DEP_1) | instskip(SKIP_1) | instid1(VALU_DEP_4)
	v_add_co_ci_u32_e64 v4, s3, 0, v4, s3
	v_add_co_u32 v1, s3, v1, s22
	s_or_b32 s2, vcc_lo, s2
	v_add_co_ci_u32_e64 v2, s3, 0, v2, s3
	s_and_b32 s2, exec_lo, s2
	s_delay_alu instid0(SALU_CYCLE_1)
	s_or_b32 s20, s2, s20
	s_waitcnt vmcnt(2)
	v_and_b32_e32 v16, 0xffff0000, v5
	s_waitcnt vmcnt(0)
	v_and_b32_e32 v18, 0xffff0000, v9
	v_lshlrev_b32_e32 v15, 16, v9
	v_alignbit_b32 v9, v10, v9, 16
	s_delay_alu instid0(VALU_DEP_3) | instskip(NEXT) | instid1(VALU_DEP_3)
	v_dual_sub_f32 v22, 1.0, v18 :: v_dual_lshlrev_b32 v13, 16, v5
	v_sub_f32_e32 v20, 1.0, v15
	v_alignbit_b32 v5, v6, v5, 16
	s_delay_alu instid0(VALU_DEP_4) | instskip(SKIP_1) | instid1(VALU_DEP_3)
	v_and_b32_e32 v9, 0xffff0000, v9
	v_cmp_lt_f32_e64 s6, |v15|, 0.5
	v_and_b32_e32 v5, 0xffff0000, v5
	v_and_b32_e32 v10, 0xffff0000, v10
	s_delay_alu instid0(VALU_DEP_1) | instskip(SKIP_4) | instid1(VALU_DEP_1)
	v_dual_sub_f32 v24, 1.0, v10 :: v_dual_and_b32 v17, 0xffff0000, v7
	v_lshlrev_b32_e32 v14, 16, v7
	v_alignbit_b32 v7, v8, v7, 16
	v_and_b32_e32 v6, 0xffff0000, v6
	v_and_b32_e32 v8, 0xffff0000, v8
	v_sub_f32_e32 v23, v8, v6
	v_sub_f32_e32 v21, v17, v16
	v_sub_f32_e32 v19, v14, v13
	v_and_b32_e32 v7, 0xffff0000, v7
	s_delay_alu instid0(VALU_DEP_3) | instskip(NEXT) | instid1(VALU_DEP_3)
	v_fma_f32 v17, -v21, v22, v17
	v_fmac_f32_e32 v13, v19, v15
	v_fma_f32 v14, -v19, v20, v14
	v_fmac_f32_e32 v16, v21, v18
	v_cmp_lt_f32_e64 s4, |v18|, 0.5
	v_sub_f32_e32 v18, v7, v5
	v_sub_f32_e32 v19, 1.0, v9
	v_fma_f32 v8, -v23, v24, v8
	s_delay_alu instid0(VALU_DEP_3)
	v_dual_fmac_f32 v5, v18, v9 :: v_dual_fmac_f32 v6, v23, v10
	v_cmp_lt_f32_e64 s5, |v10|, 0.5
	v_cndmask_b32_e64 v10, v14, v13, s6
	v_cndmask_b32_e64 v13, v17, v16, s4
	v_fma_f32 v7, -v18, v19, v7
	v_cmp_lt_f32_e64 s4, |v9|, 0.5
	v_cndmask_b32_e64 v6, v8, v6, s5
	v_bfe_u32 v8, v10, 16, 1
	v_bfe_u32 v9, v13, 16, 1
	v_cmp_o_f32_e64 s5, v10, v10
	v_cndmask_b32_e64 v5, v7, v5, s4
	v_bfe_u32 v7, v6, 16, 1
	v_add3_u32 v8, v10, v8, 0x7fff
	v_add3_u32 v9, v13, v9, 0x7fff
	v_cmp_o_f32_e64 s4, v13, v13
	v_bfe_u32 v14, v5, 16, 1
	v_add3_u32 v7, v6, v7, 0x7fff
	v_lshrrev_b32_e32 v8, 16, v8
	v_and_b32_e32 v9, 0xffff0000, v9
	s_delay_alu instid0(VALU_DEP_4) | instskip(NEXT) | instid1(VALU_DEP_4)
	v_add3_u32 v14, v5, v14, 0x7fff
	v_and_b32_e32 v7, 0xffff0000, v7
	s_delay_alu instid0(VALU_DEP_4) | instskip(NEXT) | instid1(VALU_DEP_4)
	v_cndmask_b32_e64 v8, 0x7fc0, v8, s5
	v_cndmask_b32_e64 v9, 0x7fc00000, v9, s4
	v_cmp_o_f32_e64 s4, v6, v6
	v_lshrrev_b32_e32 v10, 16, v14
	s_delay_alu instid0(VALU_DEP_2) | instskip(SKIP_2) | instid1(VALU_DEP_2)
	v_cndmask_b32_e64 v6, 0x7fc00000, v7, s4
	v_cmp_o_f32_e64 s4, v5, v5
	v_or_b32_e32 v7, v8, v9
	v_cndmask_b32_e64 v5, 0x7fc0, v10, s4
	s_delay_alu instid0(VALU_DEP_1) | instskip(NEXT) | instid1(VALU_DEP_3)
	v_or3_b32 v6, 0, v5, v6
	v_or3_b32 v5, v7, 0, 0
	global_store_b64 v[11:12], v[5:6], off
	s_and_not1_b32 exec_lo, exec_lo, s20
	s_cbranch_execnz .LBB5_3
.LBB5_4:
	s_or_b32 exec_lo, exec_lo, s7
	s_mov_b32 s2, 0
.LBB5_5:
	s_delay_alu instid0(SALU_CYCLE_1)
	s_and_not1_b32 vcc_lo, exec_lo, s2
	s_cbranch_vccnz .LBB5_33
; %bb.6:
	v_cmp_lt_i64_e64 s2, s[10:11], 1
	s_delay_alu instid0(VALU_DEP_1)
	s_and_b32 vcc_lo, exec_lo, s2
	s_cbranch_vccnz .LBB5_33
; %bb.7:
	s_load_b32 s0, s[0:1], 0xbfc
	v_dual_mov_b32 v2, 0 :: v_dual_lshlrev_b32 v1, 1, v0
	v_cmp_gt_u64_e64 s1, 0x10000, s[10:11]
	s_mov_b64 s[6:7], 0
	s_delay_alu instid0(VALU_DEP_2) | instskip(NEXT) | instid1(VALU_DEP_1)
	v_add_co_u32 v5, s2, s18, v1
	v_add_co_ci_u32_e64 v6, null, s19, 0, s2
	v_add_co_u32 v7, s2, s12, v1
	s_delay_alu instid0(VALU_DEP_1) | instskip(SKIP_1) | instid1(VALU_DEP_1)
	v_add_co_ci_u32_e64 v8, null, s13, 0, s2
	v_add_co_u32 v9, s2, s16, v1
	v_add_co_ci_u32_e64 v10, null, s17, 0, s2
	v_add_co_u32 v11, s2, s14, v1
	s_waitcnt lgkmcnt(0)
	s_and_b32 s0, s0, 0xffff
	s_and_b32 s1, s1, exec_lo
	v_mad_u64_u32 v[3:4], null, s0, 6, v[1:2]
	s_cselect_b32 s5, s11, 0
	s_cselect_b32 s4, s10, 0x10000
	s_lshl_b32 s20, s0, 2
	v_add_co_ci_u32_e64 v12, null, s15, 0, s2
	v_add_co_u32 v1, s3, s20, v1
	s_delay_alu instid0(VALU_DEP_3) | instskip(NEXT) | instid1(VALU_DEP_4)
	v_add_co_u32 v13, vcc_lo, s18, v3
	v_add_co_ci_u32_e32 v14, vcc_lo, s19, v4, vcc_lo
	v_add_co_u32 v15, vcc_lo, s12, v3
	v_add_co_ci_u32_e32 v16, vcc_lo, s13, v4, vcc_lo
	;; [unrolled: 2-line block ×3, first 2 shown]
	v_add_co_u32 v19, vcc_lo, s14, v3
	v_add_co_ci_u32_e64 v2, null, 0, 0, s3
	v_add_co_ci_u32_e32 v20, vcc_lo, s15, v4, vcc_lo
	s_mul_i32 s2, s0, 3
	v_add_co_u32 v23, vcc_lo, s18, v1
	v_add_co_u32 v21, s2, s2, v0
	v_add_co_ci_u32_e32 v24, vcc_lo, s19, v2, vcc_lo
	v_add_co_u32 v25, vcc_lo, s12, v1
	v_add_co_ci_u32_e64 v22, null, 0, 0, s2
	v_add_co_u32 v29, s2, v0, s0
	v_add_co_ci_u32_e32 v26, vcc_lo, s13, v2, vcc_lo
	v_add_co_u32 v27, vcc_lo, s16, v1
	v_add_co_ci_u32_e32 v28, vcc_lo, s17, v2, vcc_lo
	v_add_co_u32 v30, vcc_lo, s14, v1
	v_lshlrev_b32_e32 v1, 1, v29
	s_lshl_b32 s1, s0, 1
	v_add_co_ci_u32_e32 v31, vcc_lo, s15, v2, vcc_lo
	v_add_co_u32 v33, s1, s1, v0
	s_delay_alu instid0(VALU_DEP_1) | instskip(SKIP_1) | instid1(VALU_DEP_1)
	v_add_co_ci_u32_e64 v34, null, 0, 0, s1
	v_add_co_u32 v35, s1, s18, v1
	v_add_co_ci_u32_e64 v36, null, s19, 0, s1
	v_add_co_u32 v37, s1, s12, v1
	s_delay_alu instid0(VALU_DEP_1) | instskip(SKIP_1) | instid1(VALU_DEP_1)
	v_add_co_ci_u32_e64 v38, null, s13, 0, s1
	v_add_co_u32 v39, s1, s16, v1
	v_add_co_ci_u32_e64 v40, null, s17, 0, s1
	v_add_co_u32 v41, s1, s14, v1
	v_add_co_ci_u32_e64 v32, null, 0, 0, s2
	v_add_co_ci_u32_e64 v42, null, s15, 0, s1
	s_mov_b32 s12, 0
	s_lshl_b32 s13, s0, 3
	s_branch .LBB5_9
.LBB5_8:                                ;   in Loop: Header=BB5_9 Depth=1
	s_or_b32 exec_lo, exec_lo, s0
	v_add_co_u32 v5, vcc_lo, v5, s13
	v_add_co_ci_u32_e32 v6, vcc_lo, 0, v6, vcc_lo
	v_add_co_u32 v7, vcc_lo, v7, s13
	v_add_co_ci_u32_e32 v8, vcc_lo, 0, v8, vcc_lo
	;; [unrolled: 2-line block ×13, first 2 shown]
	s_add_u32 s6, s6, s20
	v_add_co_u32 v37, vcc_lo, v37, s13
	s_addc_u32 s7, s7, 0
	v_add_co_ci_u32_e32 v38, vcc_lo, 0, v38, vcc_lo
	v_cmp_ge_i64_e64 s0, s[6:7], s[10:11]
	v_cmp_lt_u64_e64 s1, 0xffff, s[6:7]
	v_add_co_u32 v39, vcc_lo, v39, s13
	v_add_co_ci_u32_e32 v40, vcc_lo, 0, v40, vcc_lo
	v_add_co_u32 v41, vcc_lo, v41, s13
	v_add_co_ci_u32_e32 v42, vcc_lo, 0, v42, vcc_lo
	s_or_b32 s0, s0, s1
	s_delay_alu instid0(SALU_CYCLE_1)
	s_and_b32 vcc_lo, exec_lo, s0
	s_cbranch_vccnz .LBB5_33
.LBB5_9:                                ; =>This Inner Loop Header: Depth=1
	v_add_co_u32 v3, s0, v0, s6
	s_delay_alu instid0(VALU_DEP_1) | instskip(SKIP_3) | instid1(VALU_DEP_3)
	v_add_co_ci_u32_e64 v4, null, 0, s7, s0
	v_mov_b32_e32 v1, 0
	s_waitcnt vmcnt(0)
	v_dual_mov_b32 v2, 0 :: v_dual_mov_b32 v43, 0
	v_cmp_gt_u64_e32 vcc_lo, s[4:5], v[3:4]
	s_delay_alu instid0(VALU_DEP_2)
	v_dual_mov_b32 v4, v2 :: v_dual_mov_b32 v3, v1
	s_and_saveexec_b32 s1, vcc_lo
	s_cbranch_execz .LBB5_11
; %bb.10:                               ;   in Loop: Header=BB5_9 Depth=1
	v_add_co_u32 v3, s0, v5, s8
	s_delay_alu instid0(VALU_DEP_1) | instskip(SKIP_2) | instid1(VALU_DEP_1)
	v_add_co_ci_u32_e64 v4, s0, s9, v6, s0
	global_load_u16 v44, v[3:4], off
	v_add_co_u32 v3, s0, v7, s8
	v_add_co_ci_u32_e64 v4, s0, s9, v8, s0
	global_load_u16 v43, v[3:4], off
	s_waitcnt vmcnt(1)
	v_dual_mov_b32 v4, s12 :: v_dual_and_b32 v3, 0xffff, v44
.LBB5_11:                               ;   in Loop: Header=BB5_9 Depth=1
	s_or_b32 exec_lo, exec_lo, s1
	s_and_saveexec_b32 s1, vcc_lo
	s_cbranch_execz .LBB5_13
; %bb.12:                               ;   in Loop: Header=BB5_9 Depth=1
	v_add_co_u32 v1, s0, v9, s8
	s_delay_alu instid0(VALU_DEP_1)
	v_add_co_ci_u32_e64 v2, s0, s9, v10, s0
	global_load_u16 v1, v[1:2], off
	s_waitcnt vmcnt(0)
	v_dual_mov_b32 v2, s12 :: v_dual_and_b32 v1, 0xffff, v1
.LBB5_13:                               ;   in Loop: Header=BB5_9 Depth=1
	s_or_b32 exec_lo, exec_lo, s1
	v_add_co_u32 v44, s0, v29, s6
	s_delay_alu instid0(VALU_DEP_1) | instskip(NEXT) | instid1(VALU_DEP_1)
	v_add_co_ci_u32_e64 v45, s0, s7, v32, s0
	v_cmp_gt_u64_e64 s0, s[4:5], v[44:45]
	v_mov_b32_e32 v44, 0
	s_delay_alu instid0(VALU_DEP_2)
	s_and_saveexec_b32 s2, s0
	s_cbranch_execz .LBB5_15
; %bb.14:                               ;   in Loop: Header=BB5_9 Depth=1
	v_add_co_u32 v44, s1, v35, s8
	s_delay_alu instid0(VALU_DEP_1) | instskip(SKIP_2) | instid1(VALU_DEP_1)
	v_add_co_ci_u32_e64 v45, s1, s9, v36, s1
	global_load_u16 v46, v[44:45], off
	v_add_co_u32 v44, s1, v37, s8
	v_add_co_ci_u32_e64 v45, s1, s9, v38, s1
	global_load_u16 v44, v[44:45], off
	s_waitcnt vmcnt(1)
	v_lshl_or_b32 v3, v46, 16, v3
.LBB5_15:                               ;   in Loop: Header=BB5_9 Depth=1
	s_or_b32 exec_lo, exec_lo, s2
	s_and_saveexec_b32 s2, s0
	s_cbranch_execz .LBB5_17
; %bb.16:                               ;   in Loop: Header=BB5_9 Depth=1
	v_add_co_u32 v45, s1, v39, s8
	s_delay_alu instid0(VALU_DEP_1)
	v_add_co_ci_u32_e64 v46, s1, s9, v40, s1
	global_load_u16 v45, v[45:46], off
	s_waitcnt vmcnt(0)
	v_lshl_or_b32 v1, v45, 16, v1
.LBB5_17:                               ;   in Loop: Header=BB5_9 Depth=1
	s_or_b32 exec_lo, exec_lo, s2
	v_add_co_u32 v45, s1, v33, s6
	s_delay_alu instid0(VALU_DEP_1) | instskip(NEXT) | instid1(VALU_DEP_1)
	v_add_co_ci_u32_e64 v46, s1, s7, v34, s1
	v_cmp_gt_u64_e64 s1, s[4:5], v[45:46]
	v_mov_b32_e32 v45, 0
	s_delay_alu instid0(VALU_DEP_2)
	s_and_saveexec_b32 s3, s1
	s_cbranch_execz .LBB5_19
; %bb.18:                               ;   in Loop: Header=BB5_9 Depth=1
	v_add_co_u32 v45, s2, v23, s8
	s_delay_alu instid0(VALU_DEP_1) | instskip(SKIP_2) | instid1(VALU_DEP_1)
	v_add_co_ci_u32_e64 v46, s2, s9, v24, s2
	global_load_u16 v47, v[45:46], off
	v_add_co_u32 v45, s2, v25, s8
	v_add_co_ci_u32_e64 v46, s2, s9, v26, s2
	global_load_u16 v45, v[45:46], off
	s_waitcnt vmcnt(1)
	v_or_b32_e32 v4, v47, v4
.LBB5_19:                               ;   in Loop: Header=BB5_9 Depth=1
	s_or_b32 exec_lo, exec_lo, s3
	s_and_saveexec_b32 s3, s1
	s_cbranch_execz .LBB5_21
; %bb.20:                               ;   in Loop: Header=BB5_9 Depth=1
	v_add_co_u32 v46, s2, v27, s8
	s_delay_alu instid0(VALU_DEP_1)
	v_add_co_ci_u32_e64 v47, s2, s9, v28, s2
	global_load_u16 v46, v[46:47], off
	s_waitcnt vmcnt(0)
	v_or_b32_e32 v2, v46, v2
.LBB5_21:                               ;   in Loop: Header=BB5_9 Depth=1
	s_or_b32 exec_lo, exec_lo, s3
	v_add_co_u32 v46, s2, v21, s6
	s_delay_alu instid0(VALU_DEP_1) | instskip(NEXT) | instid1(VALU_DEP_1)
	v_add_co_ci_u32_e64 v47, s2, s7, v22, s2
	v_cmp_gt_u64_e64 s2, s[4:5], v[46:47]
	v_mov_b32_e32 v46, 0
	s_delay_alu instid0(VALU_DEP_2)
	s_and_saveexec_b32 s14, s2
	s_cbranch_execnz .LBB5_27
; %bb.22:                               ;   in Loop: Header=BB5_9 Depth=1
	s_or_b32 exec_lo, exec_lo, s14
	s_and_saveexec_b32 s14, s2
	s_cbranch_execnz .LBB5_28
.LBB5_23:                               ;   in Loop: Header=BB5_9 Depth=1
	s_or_b32 exec_lo, exec_lo, s14
	s_and_saveexec_b32 s3, vcc_lo
	s_cbranch_execnz .LBB5_29
.LBB5_24:                               ;   in Loop: Header=BB5_9 Depth=1
	s_or_b32 exec_lo, exec_lo, s3
	s_and_saveexec_b32 s3, s0
	s_cbranch_execnz .LBB5_30
.LBB5_25:                               ;   in Loop: Header=BB5_9 Depth=1
	s_or_b32 exec_lo, exec_lo, s3
	s_and_saveexec_b32 s0, s1
	s_cbranch_execnz .LBB5_31
.LBB5_26:                               ;   in Loop: Header=BB5_9 Depth=1
	s_or_b32 exec_lo, exec_lo, s0
	s_and_saveexec_b32 s0, s2
	s_cbranch_execz .LBB5_8
	s_branch .LBB5_32
.LBB5_27:                               ;   in Loop: Header=BB5_9 Depth=1
	v_add_co_u32 v46, s3, v13, s8
	s_delay_alu instid0(VALU_DEP_1) | instskip(SKIP_3) | instid1(VALU_DEP_1)
	v_add_co_ci_u32_e64 v47, s3, s9, v14, s3
	v_mov_b32_e32 v48, 0
	global_load_d16_hi_b16 v48, v[46:47], off
	v_add_co_u32 v46, s3, v15, s8
	v_add_co_ci_u32_e64 v47, s3, s9, v16, s3
	global_load_u16 v46, v[46:47], off
	s_waitcnt vmcnt(1)
	v_or_b32_e32 v4, v48, v4
	s_or_b32 exec_lo, exec_lo, s14
	s_and_saveexec_b32 s14, s2
	s_cbranch_execz .LBB5_23
.LBB5_28:                               ;   in Loop: Header=BB5_9 Depth=1
	v_add_co_u32 v47, s3, v17, s8
	s_delay_alu instid0(VALU_DEP_1)
	v_add_co_ci_u32_e64 v48, s3, s9, v18, s3
	v_mov_b32_e32 v49, 0
	global_load_d16_hi_b16 v49, v[47:48], off
	s_waitcnt vmcnt(0)
	v_or_b32_e32 v2, v49, v2
	s_or_b32 exec_lo, exec_lo, s14
	s_and_saveexec_b32 s3, vcc_lo
	s_cbranch_execz .LBB5_24
.LBB5_29:                               ;   in Loop: Header=BB5_9 Depth=1
	v_lshlrev_b32_e32 v47, 16, v3
	v_lshlrev_b32_e32 v48, 16, v1
	s_waitcnt vmcnt(0)
	s_delay_alu instid0(VALU_DEP_1) | instskip(NEXT) | instid1(VALU_DEP_1)
	v_dual_sub_f32 v50, 1.0, v48 :: v_dual_lshlrev_b32 v43, 16, v43
	v_sub_f32_e32 v49, v43, v47
	v_cmp_lt_f32_e64 vcc_lo, |v48|, 0.5
	s_delay_alu instid0(VALU_DEP_2) | instskip(NEXT) | instid1(VALU_DEP_4)
	v_fmac_f32_e32 v47, v49, v48
	v_fma_f32 v43, -v49, v50, v43
	s_delay_alu instid0(VALU_DEP_1) | instskip(NEXT) | instid1(VALU_DEP_1)
	v_cndmask_b32_e32 v43, v43, v47, vcc_lo
	v_bfe_u32 v47, v43, 16, 1
	s_delay_alu instid0(VALU_DEP_1) | instskip(NEXT) | instid1(VALU_DEP_1)
	v_add3_u32 v47, v43, v47, 0x7fff
	v_lshrrev_b32_e32 v49, 16, v47
	v_add_co_u32 v47, vcc_lo, v11, s8
	v_add_co_ci_u32_e32 v48, vcc_lo, s9, v12, vcc_lo
	v_cmp_o_f32_e32 vcc_lo, v43, v43
	s_delay_alu instid0(VALU_DEP_4)
	v_cndmask_b32_e32 v43, 0x7fc0, v49, vcc_lo
	global_store_b16 v[47:48], v43, off
	s_or_b32 exec_lo, exec_lo, s3
	s_and_saveexec_b32 s3, s0
	s_cbranch_execz .LBB5_25
.LBB5_30:                               ;   in Loop: Header=BB5_9 Depth=1
	s_waitcnt vmcnt(0)
	v_and_b32_e32 v43, 0xffff0000, v3
	v_and_b32_e32 v47, 0xffff0000, v1
	s_delay_alu instid0(VALU_DEP_1) | instskip(NEXT) | instid1(VALU_DEP_1)
	v_dual_sub_f32 v49, 1.0, v47 :: v_dual_lshlrev_b32 v44, 16, v44
	v_sub_f32_e32 v48, v44, v43
	v_cmp_lt_f32_e64 vcc_lo, |v47|, 0.5
	s_delay_alu instid0(VALU_DEP_2) | instskip(NEXT) | instid1(VALU_DEP_4)
	v_fmac_f32_e32 v43, v48, v47
	v_fma_f32 v44, -v48, v49, v44
	s_delay_alu instid0(VALU_DEP_1) | instskip(NEXT) | instid1(VALU_DEP_1)
	v_cndmask_b32_e32 v43, v44, v43, vcc_lo
	v_bfe_u32 v44, v43, 16, 1
	v_cmp_o_f32_e32 vcc_lo, v43, v43
	s_delay_alu instid0(VALU_DEP_2) | instskip(NEXT) | instid1(VALU_DEP_1)
	v_add3_u32 v44, v43, v44, 0x7fff
	v_lshrrev_b32_e32 v44, 16, v44
	s_delay_alu instid0(VALU_DEP_1)
	v_cndmask_b32_e32 v47, 0x7fc0, v44, vcc_lo
	v_add_co_u32 v43, vcc_lo, v41, s8
	v_add_co_ci_u32_e32 v44, vcc_lo, s9, v42, vcc_lo
	global_store_b16 v[43:44], v47, off
	s_or_b32 exec_lo, exec_lo, s3
	s_and_saveexec_b32 s0, s1
	s_cbranch_execz .LBB5_26
.LBB5_31:                               ;   in Loop: Header=BB5_9 Depth=1
	v_alignbit_b32 v3, v4, v3, 16
	v_alignbit_b32 v1, v2, v1, 16
	s_waitcnt vmcnt(0)
	v_lshlrev_b32_e32 v43, 16, v45
	s_delay_alu instid0(VALU_DEP_3) | instskip(NEXT) | instid1(VALU_DEP_1)
	v_and_b32_e32 v3, 0xffff0000, v3
	v_dual_sub_f32 v44, v43, v3 :: v_dual_and_b32 v1, 0xffff0000, v1
	s_delay_alu instid0(VALU_DEP_1) | instskip(SKIP_1) | instid1(VALU_DEP_3)
	v_sub_f32_e32 v45, 1.0, v1
	v_cmp_lt_f32_e64 vcc_lo, |v1|, 0.5
	v_fmac_f32_e32 v3, v44, v1
	s_delay_alu instid0(VALU_DEP_3) | instskip(NEXT) | instid1(VALU_DEP_1)
	v_fma_f32 v43, -v44, v45, v43
	v_cndmask_b32_e32 v1, v43, v3, vcc_lo
	s_delay_alu instid0(VALU_DEP_1) | instskip(SKIP_1) | instid1(VALU_DEP_2)
	v_bfe_u32 v3, v1, 16, 1
	v_cmp_o_f32_e32 vcc_lo, v1, v1
	v_add3_u32 v3, v1, v3, 0x7fff
	s_delay_alu instid0(VALU_DEP_1) | instskip(NEXT) | instid1(VALU_DEP_1)
	v_lshrrev_b32_e32 v3, 16, v3
	v_cndmask_b32_e32 v1, 0x7fc0, v3, vcc_lo
	v_add_co_u32 v43, vcc_lo, v30, s8
	v_add_co_ci_u32_e32 v44, vcc_lo, s9, v31, vcc_lo
	global_store_b16 v[43:44], v1, off
	s_or_b32 exec_lo, exec_lo, s0
	s_and_saveexec_b32 s0, s2
	s_cbranch_execz .LBB5_8
.LBB5_32:                               ;   in Loop: Header=BB5_9 Depth=1
	v_and_b32_e32 v1, 0xffff0000, v4
	s_waitcnt vmcnt(0)
	v_lshlrev_b32_e32 v3, 16, v46
	v_and_b32_e32 v2, 0xffff0000, v2
	s_delay_alu instid0(VALU_DEP_1) | instskip(SKIP_1) | instid1(VALU_DEP_2)
	v_dual_sub_f32 v4, v3, v1 :: v_dual_sub_f32 v43, 1.0, v2
	v_cmp_lt_f32_e64 vcc_lo, |v2|, 0.5
	v_fmac_f32_e32 v1, v4, v2
	s_delay_alu instid0(VALU_DEP_3) | instskip(NEXT) | instid1(VALU_DEP_1)
	v_fma_f32 v3, -v4, v43, v3
	v_cndmask_b32_e32 v1, v3, v1, vcc_lo
	s_delay_alu instid0(VALU_DEP_1) | instskip(SKIP_1) | instid1(VALU_DEP_2)
	v_bfe_u32 v2, v1, 16, 1
	v_cmp_o_f32_e32 vcc_lo, v1, v1
	v_add3_u32 v2, v1, v2, 0x7fff
	s_delay_alu instid0(VALU_DEP_1) | instskip(NEXT) | instid1(VALU_DEP_1)
	v_lshrrev_b32_e32 v2, 16, v2
	v_cndmask_b32_e32 v3, 0x7fc0, v2, vcc_lo
	v_add_co_u32 v1, vcc_lo, v19, s8
	v_add_co_ci_u32_e32 v2, vcc_lo, s9, v20, vcc_lo
	global_store_b16 v[1:2], v3, off
	s_branch .LBB5_8
.LBB5_33:
	s_nop 0
	s_sendmsg sendmsg(MSG_DEALLOC_VGPRS)
	s_endpgm
	.section	.rodata,"a",@progbits
	.p2align	6, 0x0
	.amdhsa_kernel _ZN2at6native12_GLOBAL__N_125multi_tensor_apply_kernelINS1_18TensorListMetadataILi4EEENS1_20TernaryOpListFunctorIN3c108BFloat16ELi4ELi3ELi3EEEJNS0_11LerpFunctorIfEEEEEvT_T0_DpT1_
		.amdhsa_group_segment_fixed_size 0
		.amdhsa_private_segment_fixed_size 0
		.amdhsa_kernarg_size 3312
		.amdhsa_user_sgpr_count 15
		.amdhsa_user_sgpr_dispatch_ptr 0
		.amdhsa_user_sgpr_queue_ptr 0
		.amdhsa_user_sgpr_kernarg_segment_ptr 1
		.amdhsa_user_sgpr_dispatch_id 0
		.amdhsa_user_sgpr_private_segment_size 0
		.amdhsa_wavefront_size32 1
		.amdhsa_uses_dynamic_stack 0
		.amdhsa_enable_private_segment 0
		.amdhsa_system_sgpr_workgroup_id_x 1
		.amdhsa_system_sgpr_workgroup_id_y 0
		.amdhsa_system_sgpr_workgroup_id_z 0
		.amdhsa_system_sgpr_workgroup_info 0
		.amdhsa_system_vgpr_workitem_id 0
		.amdhsa_next_free_vgpr 51
		.amdhsa_next_free_sgpr 23
		.amdhsa_reserve_vcc 1
		.amdhsa_float_round_mode_32 0
		.amdhsa_float_round_mode_16_64 0
		.amdhsa_float_denorm_mode_32 3
		.amdhsa_float_denorm_mode_16_64 3
		.amdhsa_dx10_clamp 1
		.amdhsa_ieee_mode 1
		.amdhsa_fp16_overflow 0
		.amdhsa_workgroup_processor_mode 1
		.amdhsa_memory_ordered 1
		.amdhsa_forward_progress 0
		.amdhsa_shared_vgpr_count 0
		.amdhsa_exception_fp_ieee_invalid_op 0
		.amdhsa_exception_fp_denorm_src 0
		.amdhsa_exception_fp_ieee_div_zero 0
		.amdhsa_exception_fp_ieee_overflow 0
		.amdhsa_exception_fp_ieee_underflow 0
		.amdhsa_exception_fp_ieee_inexact 0
		.amdhsa_exception_int_div_zero 0
	.end_amdhsa_kernel
	.section	.text._ZN2at6native12_GLOBAL__N_125multi_tensor_apply_kernelINS1_18TensorListMetadataILi4EEENS1_20TernaryOpListFunctorIN3c108BFloat16ELi4ELi3ELi3EEEJNS0_11LerpFunctorIfEEEEEvT_T0_DpT1_,"axG",@progbits,_ZN2at6native12_GLOBAL__N_125multi_tensor_apply_kernelINS1_18TensorListMetadataILi4EEENS1_20TernaryOpListFunctorIN3c108BFloat16ELi4ELi3ELi3EEEJNS0_11LerpFunctorIfEEEEEvT_T0_DpT1_,comdat
.Lfunc_end5:
	.size	_ZN2at6native12_GLOBAL__N_125multi_tensor_apply_kernelINS1_18TensorListMetadataILi4EEENS1_20TernaryOpListFunctorIN3c108BFloat16ELi4ELi3ELi3EEEJNS0_11LerpFunctorIfEEEEEvT_T0_DpT1_, .Lfunc_end5-_ZN2at6native12_GLOBAL__N_125multi_tensor_apply_kernelINS1_18TensorListMetadataILi4EEENS1_20TernaryOpListFunctorIN3c108BFloat16ELi4ELi3ELi3EEEJNS0_11LerpFunctorIfEEEEEvT_T0_DpT1_
                                        ; -- End function
	.section	.AMDGPU.csdata,"",@progbits
; Kernel info:
; codeLenInByte = 3000
; NumSgprs: 25
; NumVgprs: 51
; ScratchSize: 0
; MemoryBound: 0
; FloatMode: 240
; IeeeMode: 1
; LDSByteSize: 0 bytes/workgroup (compile time only)
; SGPRBlocks: 3
; VGPRBlocks: 6
; NumSGPRsForWavesPerEU: 25
; NumVGPRsForWavesPerEU: 51
; Occupancy: 16
; WaveLimiterHint : 0
; COMPUTE_PGM_RSRC2:SCRATCH_EN: 0
; COMPUTE_PGM_RSRC2:USER_SGPR: 15
; COMPUTE_PGM_RSRC2:TRAP_HANDLER: 0
; COMPUTE_PGM_RSRC2:TGID_X_EN: 1
; COMPUTE_PGM_RSRC2:TGID_Y_EN: 0
; COMPUTE_PGM_RSRC2:TGID_Z_EN: 0
; COMPUTE_PGM_RSRC2:TIDIG_COMP_CNT: 0
	.section	.text._ZN2at6native12_GLOBAL__N_125multi_tensor_apply_kernelINS1_18TensorListMetadataILi3EEENS1_20TernaryOpListFunctorIdLi3ELi3ELi0EEEJNS0_11LerpFunctorIdEEEEEvT_T0_DpT1_,"axG",@progbits,_ZN2at6native12_GLOBAL__N_125multi_tensor_apply_kernelINS1_18TensorListMetadataILi3EEENS1_20TernaryOpListFunctorIdLi3ELi3ELi0EEEJNS0_11LerpFunctorIdEEEEEvT_T0_DpT1_,comdat
	.globl	_ZN2at6native12_GLOBAL__N_125multi_tensor_apply_kernelINS1_18TensorListMetadataILi3EEENS1_20TernaryOpListFunctorIdLi3ELi3ELi0EEEJNS0_11LerpFunctorIdEEEEEvT_T0_DpT1_ ; -- Begin function _ZN2at6native12_GLOBAL__N_125multi_tensor_apply_kernelINS1_18TensorListMetadataILi3EEENS1_20TernaryOpListFunctorIdLi3ELi3ELi0EEEJNS0_11LerpFunctorIdEEEEEvT_T0_DpT1_
	.p2align	8
	.type	_ZN2at6native12_GLOBAL__N_125multi_tensor_apply_kernelINS1_18TensorListMetadataILi3EEENS1_20TernaryOpListFunctorIdLi3ELi3ELi0EEEJNS0_11LerpFunctorIdEEEEEvT_T0_DpT1_,@function
_ZN2at6native12_GLOBAL__N_125multi_tensor_apply_kernelINS1_18TensorListMetadataILi3EEENS1_20TernaryOpListFunctorIdLi3ELi3ELi0EEEJNS0_11LerpFunctorIdEEEEEvT_T0_DpT1_: ; @_ZN2at6native12_GLOBAL__N_125multi_tensor_apply_kernelINS1_18TensorListMetadataILi3EEENS1_20TernaryOpListFunctorIdLi3ELi3ELi0EEEJNS0_11LerpFunctorIdEEEEEvT_T0_DpT1_
; %bb.0:
	v_mov_b32_e32 v1, s15
	s_add_u32 s2, s0, s15
	s_mul_hi_u32 s3, s15, 3
	s_mul_i32 s15, s15, 3
	s_addc_u32 s4, s1, 0
	global_load_u8 v1, v1, s[0:1] offset:1536
	s_add_u32 s2, s2, s15
	s_addc_u32 s3, s4, s3
	s_mov_b32 s23, 0
	s_load_b32 s6, s[2:3], 0x740
	s_mov_b32 s25, s23
	s_waitcnt lgkmcnt(0)
	s_ashr_i32 s7, s6, 31
	s_delay_alu instid0(SALU_CYCLE_1) | instskip(SKIP_2) | instid1(VALU_DEP_1)
	s_lshl_b64 s[4:5], s[6:7], 19
	s_waitcnt vmcnt(0)
	v_readfirstlane_b32 s2, v1
	s_lshl_b32 s2, s2, 3
	s_clause 0x3
	s_load_b64 s[10:11], s[0:1], s2 offset:0x0
	s_load_b64 s[12:13], s[0:1], s2 offset:0x180
	;; [unrolled: 1-line block ×4, first 2 shown]
	s_waitcnt lgkmcnt(0)
	s_add_u32 s3, s10, s4
	s_addc_u32 s8, s11, s5
	s_and_b32 s22, s3, 31
	s_add_u32 s9, s12, s4
	s_addc_u32 s16, s13, s5
	s_add_u32 s17, s14, s4
	s_addc_u32 s18, s15, s5
	s_or_b32 s2, s17, s9
	s_delay_alu instid0(SALU_CYCLE_1) | instskip(NEXT) | instid1(SALU_CYCLE_1)
	s_and_b32 s2, s2, 31
	s_cmp_lg_u32 s2, 0
	s_cselect_b32 s2, -1, 0
	s_lshl_b64 s[6:7], s[6:7], 16
	s_delay_alu instid0(SALU_CYCLE_1) | instskip(SKIP_2) | instid1(SALU_CYCLE_1)
	s_sub_u32 s6, s20, s6
	s_subb_u32 s7, s21, s7
	s_and_b32 s24, s20, 3
	s_or_b64 s[20:21], s[22:23], s[24:25]
	s_delay_alu instid0(SALU_CYCLE_1) | instskip(SKIP_1) | instid1(SALU_CYCLE_1)
	s_cmp_lg_u64 s[20:21], 0
	s_cselect_b32 s19, -1, 0
	s_or_b32 s2, s2, s19
	s_delay_alu instid0(SALU_CYCLE_1)
	s_and_not1_b32 vcc_lo, exec_lo, s2
	s_mov_b32 s2, -1
	s_cbranch_vccz .LBB6_21
; %bb.1:
	v_dual_mov_b32 v30, 0 :: v_dual_lshlrev_b32 v29, 2, v0
	s_mov_b32 s19, exec_lo
	s_delay_alu instid0(VALU_DEP_1)
	v_cmpx_gt_i64_e64 s[6:7], v[29:30]
	s_cbranch_execz .LBB6_20
; %bb.2:
	s_load_b32 s2, s[0:1], 0xc5c
	v_lshlrev_b32_e32 v33, 5, v0
	s_mov_b32 s20, 0
	s_waitcnt lgkmcnt(0)
	s_and_b32 s2, s2, 0xffff
	s_delay_alu instid0(SALU_CYCLE_1)
	v_add_lshl_u32 v29, v0, s2, 2
	s_lshl_b32 s21, s2, 2
	s_lshl_b32 s22, s2, 5
	s_branch .LBB6_4
.LBB6_3:                                ;   in Loop: Header=BB6_4 Depth=1
	s_or_b32 exec_lo, exec_lo, s2
	v_cmp_le_i64_e32 vcc_lo, s[6:7], v[29:30]
	v_cmp_lt_u64_e64 s2, 0xffff, v[29:30]
	s_clause 0x1
	global_store_b128 v[31:32], v[1:4], off
	global_store_b128 v[31:32], v[17:20], off offset:16
	s_or_b32 s2, vcc_lo, s2
	s_add_u32 s3, s3, s22
	s_addc_u32 s8, s8, 0
	s_add_u32 s17, s17, s22
	v_add_co_u32 v29, vcc_lo, v29, s21
	s_addc_u32 s18, s18, 0
	s_add_u32 s9, s9, s22
	v_add_co_ci_u32_e32 v30, vcc_lo, 0, v30, vcc_lo
	s_addc_u32 s16, s16, 0
	s_and_b32 s2, exec_lo, s2
	s_delay_alu instid0(SALU_CYCLE_1) | instskip(NEXT) | instid1(SALU_CYCLE_1)
	s_or_b32 s20, s2, s20
	s_and_not1_b32 exec_lo, exec_lo, s20
	s_cbranch_execz .LBB6_20
.LBB6_4:                                ; =>This Inner Loop Header: Depth=1
	v_add_co_u32 v31, s2, s3, v33
	s_delay_alu instid0(VALU_DEP_1) | instskip(SKIP_1) | instid1(VALU_DEP_1)
	v_add_co_ci_u32_e64 v32, null, s8, 0, s2
	v_add_co_u32 v1, s2, s17, v33
	v_add_co_ci_u32_e64 v2, null, s18, 0, s2
	v_add_co_u32 v3, s2, s9, v33
	s_delay_alu instid0(VALU_DEP_1)
	v_add_co_ci_u32_e64 v4, null, s16, 0, s2
	global_load_b128 v[17:20], v[31:32], off
	global_load_b128 v[21:24], v[1:2], off
	;; [unrolled: 1-line block ×3, first 2 shown]
	global_load_b128 v[9:12], v[31:32], off offset:16
	global_load_b128 v[13:16], v[3:4], off offset:16
	;; [unrolled: 1-line block ×3, first 2 shown]
                                        ; implicit-def: $vgpr1_vgpr2
	s_waitcnt vmcnt(4)
	v_cmp_nlt_f64_e64 s2, |v[21:22]|, 0.5
	s_waitcnt vmcnt(3)
	v_add_f64 v[3:4], v[25:26], -v[17:18]
	s_delay_alu instid0(VALU_DEP_2) | instskip(NEXT) | instid1(SALU_CYCLE_1)
	s_and_saveexec_b32 s23, s2
	s_xor_b32 s2, exec_lo, s23
; %bb.5:                                ;   in Loop: Header=BB6_4 Depth=1
	v_add_f64 v[1:2], -v[21:22], 1.0
	s_delay_alu instid0(VALU_DEP_1)
	v_fma_f64 v[1:2], -v[3:4], v[1:2], v[25:26]
                                        ; implicit-def: $vgpr3_vgpr4
; %bb.6:                                ;   in Loop: Header=BB6_4 Depth=1
	s_and_not1_saveexec_b32 s2, s2
; %bb.7:                                ;   in Loop: Header=BB6_4 Depth=1
	v_fma_f64 v[1:2], v[3:4], v[21:22], v[17:18]
; %bb.8:                                ;   in Loop: Header=BB6_4 Depth=1
	s_or_b32 exec_lo, exec_lo, s2
	v_cmp_nlt_f64_e64 s2, |v[23:24]|, 0.5
	v_add_f64 v[17:18], v[27:28], -v[19:20]
	s_delay_alu instid0(VALU_DEP_2) | instskip(NEXT) | instid1(SALU_CYCLE_1)
	s_and_saveexec_b32 s23, s2
	s_xor_b32 s2, exec_lo, s23
; %bb.9:                                ;   in Loop: Header=BB6_4 Depth=1
	v_add_f64 v[3:4], -v[23:24], 1.0
                                        ; implicit-def: $vgpr23_vgpr24
                                        ; implicit-def: $vgpr19_vgpr20
	s_delay_alu instid0(VALU_DEP_1)
	v_fma_f64 v[3:4], -v[17:18], v[3:4], v[27:28]
                                        ; implicit-def: $vgpr17_vgpr18
; %bb.10:                               ;   in Loop: Header=BB6_4 Depth=1
	s_and_not1_saveexec_b32 s2, s2
; %bb.11:                               ;   in Loop: Header=BB6_4 Depth=1
	v_fma_f64 v[3:4], v[17:18], v[23:24], v[19:20]
; %bb.12:                               ;   in Loop: Header=BB6_4 Depth=1
	s_or_b32 exec_lo, exec_lo, s2
	s_waitcnt vmcnt(0)
	v_cmp_nlt_f64_e64 s2, |v[5:6]|, 0.5
	v_add_f64 v[19:20], v[13:14], -v[9:10]
                                        ; implicit-def: $vgpr17_vgpr18
	s_delay_alu instid0(VALU_DEP_2) | instskip(NEXT) | instid1(SALU_CYCLE_1)
	s_and_saveexec_b32 s23, s2
	s_xor_b32 s2, exec_lo, s23
; %bb.13:                               ;   in Loop: Header=BB6_4 Depth=1
	v_add_f64 v[5:6], -v[5:6], 1.0
	s_delay_alu instid0(VALU_DEP_1)
	v_fma_f64 v[17:18], -v[19:20], v[5:6], v[13:14]
                                        ; implicit-def: $vgpr19_vgpr20
; %bb.14:                               ;   in Loop: Header=BB6_4 Depth=1
	s_and_not1_saveexec_b32 s2, s2
; %bb.15:                               ;   in Loop: Header=BB6_4 Depth=1
	v_fma_f64 v[17:18], v[19:20], v[5:6], v[9:10]
; %bb.16:                               ;   in Loop: Header=BB6_4 Depth=1
	s_or_b32 exec_lo, exec_lo, s2
	v_cmp_nlt_f64_e64 s2, |v[7:8]|, 0.5
	v_add_f64 v[5:6], v[15:16], -v[11:12]
	s_delay_alu instid0(VALU_DEP_2) | instskip(NEXT) | instid1(SALU_CYCLE_1)
	s_and_saveexec_b32 s23, s2
	s_xor_b32 s2, exec_lo, s23
; %bb.17:                               ;   in Loop: Header=BB6_4 Depth=1
	v_add_f64 v[7:8], -v[7:8], 1.0
                                        ; implicit-def: $vgpr11_vgpr12
	s_delay_alu instid0(VALU_DEP_1)
	v_fma_f64 v[19:20], -v[5:6], v[7:8], v[15:16]
                                        ; implicit-def: $vgpr5_vgpr6
                                        ; implicit-def: $vgpr7_vgpr8
; %bb.18:                               ;   in Loop: Header=BB6_4 Depth=1
	s_and_not1_saveexec_b32 s2, s2
	s_cbranch_execz .LBB6_3
; %bb.19:                               ;   in Loop: Header=BB6_4 Depth=1
	v_fma_f64 v[19:20], v[5:6], v[7:8], v[11:12]
	s_branch .LBB6_3
.LBB6_20:
	s_or_b32 exec_lo, exec_lo, s19
	s_mov_b32 s2, 0
.LBB6_21:
	s_delay_alu instid0(SALU_CYCLE_1)
	s_and_not1_b32 vcc_lo, exec_lo, s2
	s_cbranch_vccnz .LBB6_65
; %bb.22:
	v_cmp_lt_i64_e64 s2, s[6:7], 1
	s_delay_alu instid0(VALU_DEP_1)
	s_and_b32 vcc_lo, exec_lo, s2
	s_cbranch_vccnz .LBB6_65
; %bb.23:
	s_load_b32 s0, s[0:1], 0xc5c
	v_dual_mov_b32 v2, 0 :: v_dual_lshlrev_b32 v1, 3, v0
	v_cmp_gt_u64_e64 s1, 0x10000, s[6:7]
	s_delay_alu instid0(VALU_DEP_2) | instskip(NEXT) | instid1(VALU_DEP_1)
	v_add_co_u32 v29, s2, s10, v1
	v_add_co_ci_u32_e64 v30, null, s11, 0, s2
	v_add_co_u32 v31, s2, s12, v1
	s_delay_alu instid0(VALU_DEP_1) | instskip(SKIP_1) | instid1(VALU_DEP_1)
	v_add_co_ci_u32_e64 v32, null, s13, 0, s2
	v_add_co_u32 v33, s2, s14, v1
	v_add_co_ci_u32_e64 v34, null, s15, 0, s2
	s_waitcnt lgkmcnt(0)
	s_and_b32 s0, s0, 0xffff
	s_and_b32 s1, s1, exec_lo
	v_mad_u64_u32 v[3:4], null, s0, 24, v[1:2]
	s_cselect_b32 s9, s7, 0
	s_cselect_b32 s8, s6, 0x10000
	s_lshl_b32 s3, s0, 4
	s_mul_i32 s2, s0, 3
	v_add_co_u32 v1, s3, s3, v1
	s_delay_alu instid0(VALU_DEP_2) | instskip(NEXT) | instid1(VALU_DEP_3)
	v_add_co_u32 v35, vcc_lo, s10, v3
	v_add_co_ci_u32_e32 v36, vcc_lo, s11, v4, vcc_lo
	v_add_co_u32 v37, vcc_lo, s12, v3
	v_add_co_ci_u32_e32 v38, vcc_lo, s13, v4, vcc_lo
	v_add_co_u32 v39, vcc_lo, s14, v3
	v_add_co_ci_u32_e64 v2, null, 0, 0, s3
	v_add_co_ci_u32_e32 v40, vcc_lo, s15, v4, vcc_lo
	v_add_co_u32 v41, s2, s2, v0
	v_add_co_u32 v43, vcc_lo, s10, v1
	v_add_co_ci_u32_e64 v42, null, 0, 0, s2
	v_add_co_u32 v47, s2, v0, s0
	v_add_co_ci_u32_e32 v44, vcc_lo, s11, v2, vcc_lo
	v_add_co_u32 v45, vcc_lo, s12, v1
	v_add_co_ci_u32_e32 v46, vcc_lo, s13, v2, vcc_lo
	v_add_co_u32 v48, vcc_lo, s14, v1
	v_lshlrev_b32_e32 v1, 3, v47
	s_lshl_b32 s1, s0, 1
	v_add_co_ci_u32_e32 v49, vcc_lo, s15, v2, vcc_lo
	v_add_co_u32 v51, s1, s1, v0
	s_delay_alu instid0(VALU_DEP_1) | instskip(SKIP_1) | instid1(VALU_DEP_1)
	v_add_co_ci_u32_e64 v52, null, 0, 0, s1
	v_add_co_u32 v53, s1, s10, v1
	v_add_co_ci_u32_e64 v54, null, s11, 0, s1
	v_add_co_u32 v55, s1, s12, v1
	s_delay_alu instid0(VALU_DEP_1)
	v_add_co_ci_u32_e64 v56, null, s13, 0, s1
	v_add_co_u32 v57, s1, s14, v1
	v_add_co_ci_u32_e64 v50, null, 0, 0, s2
	v_add_co_ci_u32_e64 v58, null, s15, 0, s1
	s_lshl_b32 s12, s0, 2
	s_lshl_b32 s13, s0, 5
	s_mov_b64 s[10:11], 0
	s_branch .LBB6_25
.LBB6_24:                               ;   in Loop: Header=BB6_25 Depth=1
	s_or_b32 exec_lo, exec_lo, s0
	v_add_co_u32 v29, vcc_lo, v29, s13
	v_add_co_ci_u32_e32 v30, vcc_lo, 0, v30, vcc_lo
	v_add_co_u32 v31, vcc_lo, v31, s13
	v_add_co_ci_u32_e32 v32, vcc_lo, 0, v32, vcc_lo
	;; [unrolled: 2-line block ×9, first 2 shown]
	s_add_u32 s10, s10, s12
	v_add_co_u32 v53, vcc_lo, v53, s13
	s_addc_u32 s11, s11, 0
	v_add_co_ci_u32_e32 v54, vcc_lo, 0, v54, vcc_lo
	v_cmp_ge_i64_e64 s0, s[10:11], s[6:7]
	v_cmp_lt_u64_e64 s1, 0xffff, s[10:11]
	v_add_co_u32 v55, vcc_lo, v55, s13
	v_add_co_ci_u32_e32 v56, vcc_lo, 0, v56, vcc_lo
	v_add_co_u32 v57, vcc_lo, v57, s13
	v_add_co_ci_u32_e32 v58, vcc_lo, 0, v58, vcc_lo
	s_or_b32 s0, s0, s1
	s_delay_alu instid0(SALU_CYCLE_1)
	s_and_b32 vcc_lo, exec_lo, s0
	s_cbranch_vccnz .LBB6_65
.LBB6_25:                               ; =>This Inner Loop Header: Depth=1
	v_add_co_u32 v3, s0, v0, s10
	s_delay_alu instid0(VALU_DEP_1) | instskip(SKIP_2) | instid1(VALU_DEP_3)
	v_add_co_ci_u32_e64 v4, null, 0, s11, s0
	v_mov_b32_e32 v1, 0
	v_mov_b32_e32 v2, 0
	v_cmp_gt_u64_e32 vcc_lo, s[8:9], v[3:4]
	s_delay_alu instid0(VALU_DEP_2)
	v_dual_mov_b32 v4, v2 :: v_dual_mov_b32 v3, v1
	v_dual_mov_b32 v10, v2 :: v_dual_mov_b32 v9, v1
	s_and_saveexec_b32 s1, vcc_lo
	s_cbranch_execz .LBB6_27
; %bb.26:                               ;   in Loop: Header=BB6_25 Depth=1
	v_add_co_u32 v3, s0, v29, s4
	s_delay_alu instid0(VALU_DEP_1) | instskip(SKIP_1) | instid1(VALU_DEP_1)
	v_add_co_ci_u32_e64 v4, s0, s5, v30, s0
	v_add_co_u32 v5, s0, v31, s4
	v_add_co_ci_u32_e64 v6, s0, s5, v32, s0
	global_load_b64 v[3:4], v[3:4], off
	global_load_b64 v[9:10], v[5:6], off
.LBB6_27:                               ;   in Loop: Header=BB6_25 Depth=1
	s_or_b32 exec_lo, exec_lo, s1
	s_and_saveexec_b32 s1, vcc_lo
	s_cbranch_execz .LBB6_29
; %bb.28:                               ;   in Loop: Header=BB6_25 Depth=1
	v_add_co_u32 v1, s0, v33, s4
	s_delay_alu instid0(VALU_DEP_1)
	v_add_co_ci_u32_e64 v2, s0, s5, v34, s0
	global_load_b64 v[1:2], v[1:2], off
.LBB6_29:                               ;   in Loop: Header=BB6_25 Depth=1
	s_or_b32 exec_lo, exec_lo, s1
	v_add_co_u32 v7, s0, v47, s10
	s_delay_alu instid0(VALU_DEP_1) | instskip(SKIP_2) | instid1(VALU_DEP_3)
	v_add_co_ci_u32_e64 v8, s0, s11, v50, s0
	v_mov_b32_e32 v5, 0
	v_mov_b32_e32 v6, 0
	v_cmp_gt_u64_e64 s0, s[8:9], v[7:8]
	s_delay_alu instid0(VALU_DEP_2) | instskip(SKIP_1) | instid1(VALU_DEP_3)
	v_dual_mov_b32 v8, v6 :: v_dual_mov_b32 v7, v5
	v_dual_mov_b32 v14, v6 :: v_dual_mov_b32 v13, v5
	s_and_saveexec_b32 s2, s0
	s_cbranch_execz .LBB6_31
; %bb.30:                               ;   in Loop: Header=BB6_25 Depth=1
	v_add_co_u32 v7, s1, v53, s4
	s_delay_alu instid0(VALU_DEP_1) | instskip(SKIP_1) | instid1(VALU_DEP_1)
	v_add_co_ci_u32_e64 v8, s1, s5, v54, s1
	v_add_co_u32 v11, s1, v55, s4
	v_add_co_ci_u32_e64 v12, s1, s5, v56, s1
	global_load_b64 v[7:8], v[7:8], off
	global_load_b64 v[13:14], v[11:12], off
.LBB6_31:                               ;   in Loop: Header=BB6_25 Depth=1
	s_or_b32 exec_lo, exec_lo, s2
	s_and_saveexec_b32 s2, s0
	s_cbranch_execz .LBB6_33
; %bb.32:                               ;   in Loop: Header=BB6_25 Depth=1
	v_add_co_u32 v5, s1, v57, s4
	s_delay_alu instid0(VALU_DEP_1)
	v_add_co_ci_u32_e64 v6, s1, s5, v58, s1
	global_load_b64 v[5:6], v[5:6], off
.LBB6_33:                               ;   in Loop: Header=BB6_25 Depth=1
	s_or_b32 exec_lo, exec_lo, s2
	v_add_co_u32 v15, s1, v51, s10
	s_delay_alu instid0(VALU_DEP_1) | instskip(SKIP_2) | instid1(VALU_DEP_3)
	v_add_co_ci_u32_e64 v16, s1, s11, v52, s1
	v_mov_b32_e32 v11, 0
	v_mov_b32_e32 v12, 0
	v_cmp_gt_u64_e64 s1, s[8:9], v[15:16]
	s_delay_alu instid0(VALU_DEP_2) | instskip(SKIP_1) | instid1(VALU_DEP_3)
	v_dual_mov_b32 v16, v12 :: v_dual_mov_b32 v15, v11
	v_dual_mov_b32 v20, v12 :: v_dual_mov_b32 v19, v11
	s_and_saveexec_b32 s3, s1
	s_cbranch_execz .LBB6_35
; %bb.34:                               ;   in Loop: Header=BB6_25 Depth=1
	v_add_co_u32 v15, s2, v43, s4
	s_delay_alu instid0(VALU_DEP_1) | instskip(SKIP_1) | instid1(VALU_DEP_1)
	v_add_co_ci_u32_e64 v16, s2, s5, v44, s2
	v_add_co_u32 v17, s2, v45, s4
	v_add_co_ci_u32_e64 v18, s2, s5, v46, s2
	global_load_b64 v[15:16], v[15:16], off
	global_load_b64 v[19:20], v[17:18], off
.LBB6_35:                               ;   in Loop: Header=BB6_25 Depth=1
	s_or_b32 exec_lo, exec_lo, s3
	s_and_saveexec_b32 s3, s1
	;; [unrolled: 30-line block ×3, first 2 shown]
	s_cbranch_execz .LBB6_41
; %bb.40:                               ;   in Loop: Header=BB6_25 Depth=1
	v_add_co_u32 v17, s3, v39, s4
	s_delay_alu instid0(VALU_DEP_1)
	v_add_co_ci_u32_e64 v18, s3, s5, v40, s3
	global_load_b64 v[17:18], v[17:18], off
.LBB6_41:                               ;   in Loop: Header=BB6_25 Depth=1
	s_or_b32 exec_lo, exec_lo, s14
	s_waitcnt vmcnt(0)
	v_cmp_nlt_f64_e64 s3, |v[1:2]|, 0.5
	v_add_f64 v[27:28], v[9:10], -v[3:4]
                                        ; implicit-def: $vgpr25_vgpr26
	s_delay_alu instid0(VALU_DEP_2) | instskip(NEXT) | instid1(SALU_CYCLE_1)
	s_and_saveexec_b32 s14, s3
	s_xor_b32 s3, exec_lo, s14
; %bb.42:                               ;   in Loop: Header=BB6_25 Depth=1
	v_add_f64 v[1:2], -v[1:2], 1.0
                                        ; implicit-def: $vgpr3_vgpr4
	s_delay_alu instid0(VALU_DEP_1)
	v_fma_f64 v[25:26], -v[27:28], v[1:2], v[9:10]
                                        ; implicit-def: $vgpr27_vgpr28
                                        ; implicit-def: $vgpr1_vgpr2
; %bb.43:                               ;   in Loop: Header=BB6_25 Depth=1
	s_and_not1_saveexec_b32 s3, s3
; %bb.44:                               ;   in Loop: Header=BB6_25 Depth=1
	v_fma_f64 v[25:26], v[27:28], v[1:2], v[3:4]
; %bb.45:                               ;   in Loop: Header=BB6_25 Depth=1
	s_or_b32 exec_lo, exec_lo, s3
	v_cmp_nlt_f64_e64 s3, |v[5:6]|, 0.5
	v_add_f64 v[3:4], v[13:14], -v[7:8]
                                        ; implicit-def: $vgpr1_vgpr2
	s_delay_alu instid0(VALU_DEP_2) | instskip(NEXT) | instid1(SALU_CYCLE_1)
	s_and_saveexec_b32 s14, s3
	s_xor_b32 s3, exec_lo, s14
; %bb.46:                               ;   in Loop: Header=BB6_25 Depth=1
	v_add_f64 v[1:2], -v[5:6], 1.0
                                        ; implicit-def: $vgpr5_vgpr6
                                        ; implicit-def: $vgpr7_vgpr8
	s_delay_alu instid0(VALU_DEP_1)
	v_fma_f64 v[1:2], -v[3:4], v[1:2], v[13:14]
                                        ; implicit-def: $vgpr3_vgpr4
; %bb.47:                               ;   in Loop: Header=BB6_25 Depth=1
	s_and_not1_saveexec_b32 s3, s3
; %bb.48:                               ;   in Loop: Header=BB6_25 Depth=1
	v_fma_f64 v[1:2], v[3:4], v[5:6], v[7:8]
; %bb.49:                               ;   in Loop: Header=BB6_25 Depth=1
	s_or_b32 exec_lo, exec_lo, s3
	v_cmp_nlt_f64_e64 s3, |v[11:12]|, 0.5
	v_add_f64 v[5:6], v[19:20], -v[15:16]
                                        ; implicit-def: $vgpr3_vgpr4
	s_delay_alu instid0(VALU_DEP_2) | instskip(NEXT) | instid1(SALU_CYCLE_1)
	s_and_saveexec_b32 s14, s3
	s_xor_b32 s3, exec_lo, s14
; %bb.50:                               ;   in Loop: Header=BB6_25 Depth=1
	v_add_f64 v[3:4], -v[11:12], 1.0
                                        ; implicit-def: $vgpr11_vgpr12
                                        ; implicit-def: $vgpr15_vgpr16
	s_delay_alu instid0(VALU_DEP_1)
	v_fma_f64 v[3:4], -v[5:6], v[3:4], v[19:20]
                                        ; implicit-def: $vgpr5_vgpr6
; %bb.51:                               ;   in Loop: Header=BB6_25 Depth=1
	s_and_not1_saveexec_b32 s3, s3
; %bb.52:                               ;   in Loop: Header=BB6_25 Depth=1
	v_fma_f64 v[3:4], v[5:6], v[11:12], v[15:16]
; %bb.53:                               ;   in Loop: Header=BB6_25 Depth=1
	s_or_b32 exec_lo, exec_lo, s3
	v_cmp_nlt_f64_e64 s3, |v[17:18]|, 0.5
	v_add_f64 v[7:8], v[23:24], -v[21:22]
                                        ; implicit-def: $vgpr5_vgpr6
	s_delay_alu instid0(VALU_DEP_2) | instskip(NEXT) | instid1(SALU_CYCLE_1)
	s_and_saveexec_b32 s14, s3
	s_xor_b32 s3, exec_lo, s14
	s_cbranch_execnz .LBB6_59
; %bb.54:                               ;   in Loop: Header=BB6_25 Depth=1
	s_and_not1_saveexec_b32 s3, s3
	s_cbranch_execnz .LBB6_60
.LBB6_55:                               ;   in Loop: Header=BB6_25 Depth=1
	s_or_b32 exec_lo, exec_lo, s3
	s_and_saveexec_b32 s3, vcc_lo
	s_delay_alu instid0(SALU_CYCLE_1)
	s_xor_b32 s3, exec_lo, s3
	s_cbranch_execnz .LBB6_61
.LBB6_56:                               ;   in Loop: Header=BB6_25 Depth=1
	s_or_b32 exec_lo, exec_lo, s3
	s_and_saveexec_b32 s3, s0
	s_cbranch_execnz .LBB6_62
.LBB6_57:                               ;   in Loop: Header=BB6_25 Depth=1
	s_or_b32 exec_lo, exec_lo, s3
	s_and_saveexec_b32 s0, s1
	s_cbranch_execnz .LBB6_63
.LBB6_58:                               ;   in Loop: Header=BB6_25 Depth=1
	s_or_b32 exec_lo, exec_lo, s0
	s_and_saveexec_b32 s0, s2
	s_cbranch_execz .LBB6_24
	s_branch .LBB6_64
.LBB6_59:                               ;   in Loop: Header=BB6_25 Depth=1
	v_add_f64 v[5:6], -v[17:18], 1.0
                                        ; implicit-def: $vgpr17_vgpr18
                                        ; implicit-def: $vgpr21_vgpr22
	s_delay_alu instid0(VALU_DEP_1)
	v_fma_f64 v[5:6], -v[7:8], v[5:6], v[23:24]
                                        ; implicit-def: $vgpr7_vgpr8
	s_and_not1_saveexec_b32 s3, s3
	s_cbranch_execz .LBB6_55
.LBB6_60:                               ;   in Loop: Header=BB6_25 Depth=1
	s_delay_alu instid0(VALU_DEP_1) | instskip(SKIP_2) | instid1(SALU_CYCLE_1)
	v_fma_f64 v[5:6], v[7:8], v[17:18], v[21:22]
	s_or_b32 exec_lo, exec_lo, s3
	s_and_saveexec_b32 s3, vcc_lo
	s_xor_b32 s3, exec_lo, s3
	s_cbranch_execz .LBB6_56
.LBB6_61:                               ;   in Loop: Header=BB6_25 Depth=1
	v_add_co_u32 v7, vcc_lo, v29, s4
	v_add_co_ci_u32_e32 v8, vcc_lo, s5, v30, vcc_lo
	global_store_b64 v[7:8], v[25:26], off
	s_or_b32 exec_lo, exec_lo, s3
	s_and_saveexec_b32 s3, s0
	s_cbranch_execz .LBB6_57
.LBB6_62:                               ;   in Loop: Header=BB6_25 Depth=1
	v_add_co_u32 v7, vcc_lo, v53, s4
	v_add_co_ci_u32_e32 v8, vcc_lo, s5, v54, vcc_lo
	global_store_b64 v[7:8], v[1:2], off
	s_or_b32 exec_lo, exec_lo, s3
	s_and_saveexec_b32 s0, s1
	s_cbranch_execz .LBB6_58
.LBB6_63:                               ;   in Loop: Header=BB6_25 Depth=1
	v_add_co_u32 v1, vcc_lo, v43, s4
	v_add_co_ci_u32_e32 v2, vcc_lo, s5, v44, vcc_lo
	global_store_b64 v[1:2], v[3:4], off
	s_or_b32 exec_lo, exec_lo, s0
	s_and_saveexec_b32 s0, s2
	s_cbranch_execz .LBB6_24
.LBB6_64:                               ;   in Loop: Header=BB6_25 Depth=1
	v_add_co_u32 v1, vcc_lo, v35, s4
	v_add_co_ci_u32_e32 v2, vcc_lo, s5, v36, vcc_lo
	global_store_b64 v[1:2], v[5:6], off
	s_branch .LBB6_24
.LBB6_65:
	s_nop 0
	s_sendmsg sendmsg(MSG_DEALLOC_VGPRS)
	s_endpgm
	.section	.rodata,"a",@progbits
	.p2align	6, 0x0
	.amdhsa_kernel _ZN2at6native12_GLOBAL__N_125multi_tensor_apply_kernelINS1_18TensorListMetadataILi3EEENS1_20TernaryOpListFunctorIdLi3ELi3ELi0EEEJNS0_11LerpFunctorIdEEEEEvT_T0_DpT1_
		.amdhsa_group_segment_fixed_size 0
		.amdhsa_private_segment_fixed_size 0
		.amdhsa_kernarg_size 3408
		.amdhsa_user_sgpr_count 15
		.amdhsa_user_sgpr_dispatch_ptr 0
		.amdhsa_user_sgpr_queue_ptr 0
		.amdhsa_user_sgpr_kernarg_segment_ptr 1
		.amdhsa_user_sgpr_dispatch_id 0
		.amdhsa_user_sgpr_private_segment_size 0
		.amdhsa_wavefront_size32 1
		.amdhsa_uses_dynamic_stack 0
		.amdhsa_enable_private_segment 0
		.amdhsa_system_sgpr_workgroup_id_x 1
		.amdhsa_system_sgpr_workgroup_id_y 0
		.amdhsa_system_sgpr_workgroup_id_z 0
		.amdhsa_system_sgpr_workgroup_info 0
		.amdhsa_system_vgpr_workitem_id 0
		.amdhsa_next_free_vgpr 59
		.amdhsa_next_free_sgpr 26
		.amdhsa_reserve_vcc 1
		.amdhsa_float_round_mode_32 0
		.amdhsa_float_round_mode_16_64 0
		.amdhsa_float_denorm_mode_32 3
		.amdhsa_float_denorm_mode_16_64 3
		.amdhsa_dx10_clamp 1
		.amdhsa_ieee_mode 1
		.amdhsa_fp16_overflow 0
		.amdhsa_workgroup_processor_mode 1
		.amdhsa_memory_ordered 1
		.amdhsa_forward_progress 0
		.amdhsa_shared_vgpr_count 0
		.amdhsa_exception_fp_ieee_invalid_op 0
		.amdhsa_exception_fp_denorm_src 0
		.amdhsa_exception_fp_ieee_div_zero 0
		.amdhsa_exception_fp_ieee_overflow 0
		.amdhsa_exception_fp_ieee_underflow 0
		.amdhsa_exception_fp_ieee_inexact 0
		.amdhsa_exception_int_div_zero 0
	.end_amdhsa_kernel
	.section	.text._ZN2at6native12_GLOBAL__N_125multi_tensor_apply_kernelINS1_18TensorListMetadataILi3EEENS1_20TernaryOpListFunctorIdLi3ELi3ELi0EEEJNS0_11LerpFunctorIdEEEEEvT_T0_DpT1_,"axG",@progbits,_ZN2at6native12_GLOBAL__N_125multi_tensor_apply_kernelINS1_18TensorListMetadataILi3EEENS1_20TernaryOpListFunctorIdLi3ELi3ELi0EEEJNS0_11LerpFunctorIdEEEEEvT_T0_DpT1_,comdat
.Lfunc_end6:
	.size	_ZN2at6native12_GLOBAL__N_125multi_tensor_apply_kernelINS1_18TensorListMetadataILi3EEENS1_20TernaryOpListFunctorIdLi3ELi3ELi0EEEJNS0_11LerpFunctorIdEEEEEvT_T0_DpT1_, .Lfunc_end6-_ZN2at6native12_GLOBAL__N_125multi_tensor_apply_kernelINS1_18TensorListMetadataILi3EEENS1_20TernaryOpListFunctorIdLi3ELi3ELi0EEEJNS0_11LerpFunctorIdEEEEEvT_T0_DpT1_
                                        ; -- End function
	.section	.AMDGPU.csdata,"",@progbits
; Kernel info:
; codeLenInByte = 2480
; NumSgprs: 28
; NumVgprs: 59
; ScratchSize: 0
; MemoryBound: 1
; FloatMode: 240
; IeeeMode: 1
; LDSByteSize: 0 bytes/workgroup (compile time only)
; SGPRBlocks: 3
; VGPRBlocks: 7
; NumSGPRsForWavesPerEU: 28
; NumVGPRsForWavesPerEU: 59
; Occupancy: 16
; WaveLimiterHint : 0
; COMPUTE_PGM_RSRC2:SCRATCH_EN: 0
; COMPUTE_PGM_RSRC2:USER_SGPR: 15
; COMPUTE_PGM_RSRC2:TRAP_HANDLER: 0
; COMPUTE_PGM_RSRC2:TGID_X_EN: 1
; COMPUTE_PGM_RSRC2:TGID_Y_EN: 0
; COMPUTE_PGM_RSRC2:TGID_Z_EN: 0
; COMPUTE_PGM_RSRC2:TIDIG_COMP_CNT: 0
	.section	.text._ZN2at6native12_GLOBAL__N_125multi_tensor_apply_kernelINS1_18TensorListMetadataILi3EEENS1_20TernaryOpListFunctorIfLi3ELi3ELi0EEEJNS0_11LerpFunctorIfEEEEEvT_T0_DpT1_,"axG",@progbits,_ZN2at6native12_GLOBAL__N_125multi_tensor_apply_kernelINS1_18TensorListMetadataILi3EEENS1_20TernaryOpListFunctorIfLi3ELi3ELi0EEEJNS0_11LerpFunctorIfEEEEEvT_T0_DpT1_,comdat
	.globl	_ZN2at6native12_GLOBAL__N_125multi_tensor_apply_kernelINS1_18TensorListMetadataILi3EEENS1_20TernaryOpListFunctorIfLi3ELi3ELi0EEEJNS0_11LerpFunctorIfEEEEEvT_T0_DpT1_ ; -- Begin function _ZN2at6native12_GLOBAL__N_125multi_tensor_apply_kernelINS1_18TensorListMetadataILi3EEENS1_20TernaryOpListFunctorIfLi3ELi3ELi0EEEJNS0_11LerpFunctorIfEEEEEvT_T0_DpT1_
	.p2align	8
	.type	_ZN2at6native12_GLOBAL__N_125multi_tensor_apply_kernelINS1_18TensorListMetadataILi3EEENS1_20TernaryOpListFunctorIfLi3ELi3ELi0EEEJNS0_11LerpFunctorIfEEEEEvT_T0_DpT1_,@function
_ZN2at6native12_GLOBAL__N_125multi_tensor_apply_kernelINS1_18TensorListMetadataILi3EEENS1_20TernaryOpListFunctorIfLi3ELi3ELi0EEEJNS0_11LerpFunctorIfEEEEEvT_T0_DpT1_: ; @_ZN2at6native12_GLOBAL__N_125multi_tensor_apply_kernelINS1_18TensorListMetadataILi3EEENS1_20TernaryOpListFunctorIfLi3ELi3ELi0EEEJNS0_11LerpFunctorIfEEEEEvT_T0_DpT1_
; %bb.0:
	v_mov_b32_e32 v1, s15
	s_add_u32 s2, s0, s15
	s_mul_hi_u32 s3, s15, 3
	s_mul_i32 s15, s15, 3
	s_addc_u32 s4, s1, 0
	global_load_u8 v1, v1, s[0:1] offset:1536
	s_add_u32 s2, s2, s15
	s_addc_u32 s3, s4, s3
	s_mov_b32 s25, 0
	s_load_b32 s2, s[2:3], 0x740
	s_mov_b32 s27, s25
	s_waitcnt vmcnt(0)
	v_readfirstlane_b32 s3, v1
	s_delay_alu instid0(VALU_DEP_1)
	s_lshl_b32 s3, s3, 3
	s_clause 0x3
	s_load_b64 s[10:11], s[0:1], s3 offset:0x0
	s_load_b64 s[12:13], s[0:1], s3 offset:0x180
	;; [unrolled: 1-line block ×4, first 2 shown]
	s_waitcnt lgkmcnt(0)
	s_ashr_i32 s3, s2, 31
	s_delay_alu instid0(SALU_CYCLE_1) | instskip(NEXT) | instid1(SALU_CYCLE_1)
	s_lshl_b64 s[6:7], s[2:3], 18
	s_add_u32 s5, s10, s6
	s_addc_u32 s16, s11, s7
	s_and_b32 s24, s5, 15
	s_add_u32 s17, s12, s6
	s_addc_u32 s18, s13, s7
	s_add_u32 s19, s14, s6
	s_addc_u32 s20, s15, s7
	s_or_b32 s4, s19, s17
	s_delay_alu instid0(SALU_CYCLE_1) | instskip(NEXT) | instid1(SALU_CYCLE_1)
	s_and_b32 s4, s4, 15
	s_cmp_lg_u32 s4, 0
	s_cselect_b32 s4, -1, 0
	s_lshl_b64 s[2:3], s[2:3], 16
	s_delay_alu instid0(SALU_CYCLE_1) | instskip(SKIP_2) | instid1(SALU_CYCLE_1)
	s_sub_u32 s8, s22, s2
	s_subb_u32 s9, s23, s3
	s_and_b32 s26, s22, 3
	s_or_b64 s[2:3], s[24:25], s[26:27]
	s_delay_alu instid0(SALU_CYCLE_1) | instskip(SKIP_1) | instid1(SALU_CYCLE_1)
	s_cmp_lg_u64 s[2:3], 0
	s_cselect_b32 s2, -1, 0
	s_or_b32 s2, s4, s2
	s_delay_alu instid0(SALU_CYCLE_1)
	s_and_not1_b32 vcc_lo, exec_lo, s2
	s_mov_b32 s2, -1
	s_cbranch_vccz .LBB7_5
; %bb.1:
	v_dual_mov_b32 v2, 0 :: v_dual_lshlrev_b32 v1, 2, v0
	s_mov_b32 s21, exec_lo
	s_delay_alu instid0(VALU_DEP_1)
	v_cmpx_gt_i64_e64 s[8:9], v[1:2]
	s_cbranch_execz .LBB7_4
; %bb.2:
	s_load_b32 s2, s[0:1], 0xc5c
	v_lshlrev_b32_e32 v3, 4, v0
	s_mov_b32 s22, 0
	s_waitcnt lgkmcnt(0)
	s_and_b32 s2, s2, 0xffff
	s_delay_alu instid0(SALU_CYCLE_1)
	v_add_lshl_u32 v1, v0, s2, 2
	s_lshl_b32 s23, s2, 2
	s_lshl_b32 s24, s2, 4
.LBB7_3:                                ; =>This Inner Loop Header: Depth=1
	v_add_co_u32 v16, s2, s5, v3
	s_delay_alu instid0(VALU_DEP_1) | instskip(SKIP_1) | instid1(VALU_DEP_1)
	v_add_co_ci_u32_e64 v17, null, s16, 0, s2
	v_add_co_u32 v8, s2, s17, v3
	v_add_co_ci_u32_e64 v9, null, s18, 0, s2
	v_add_co_u32 v12, s2, s19, v3
	s_delay_alu instid0(VALU_DEP_1)
	v_add_co_ci_u32_e64 v13, null, s20, 0, s2
	global_load_b128 v[4:7], v[16:17], off
	global_load_b128 v[8:11], v[8:9], off
	;; [unrolled: 1-line block ×3, first 2 shown]
	v_cmp_le_i64_e32 vcc_lo, s[8:9], v[1:2]
	v_cmp_lt_u64_e64 s2, 0xffff, v[1:2]
	v_add_co_u32 v1, s3, v1, s23
	s_delay_alu instid0(VALU_DEP_1) | instskip(NEXT) | instid1(VALU_DEP_3)
	v_add_co_ci_u32_e64 v2, s3, 0, v2, s3
	s_or_b32 s25, vcc_lo, s2
	s_add_u32 s5, s5, s24
	s_addc_u32 s16, s16, 0
	s_add_u32 s19, s19, s24
	s_addc_u32 s20, s20, 0
	;; [unrolled: 2-line block ×3, first 2 shown]
	s_waitcnt vmcnt(0)
	v_dual_sub_f32 v18, v8, v4 :: v_dual_sub_f32 v21, 1.0, v13
	v_dual_sub_f32 v19, 1.0, v12 :: v_dual_sub_f32 v20, v9, v5
	v_dual_sub_f32 v22, v10, v6 :: v_dual_sub_f32 v25, 1.0, v15
	v_dual_sub_f32 v23, 1.0, v14 :: v_dual_sub_f32 v24, v11, v7
	s_delay_alu instid0(VALU_DEP_4) | instskip(NEXT) | instid1(VALU_DEP_4)
	v_fma_f32 v4, v18, v12, v4
	v_fma_f32 v8, -v18, v19, v8
	v_fma_f32 v5, v20, v13, v5
	v_fma_f32 v9, -v20, v21, v9
	v_cmp_lt_f32_e64 vcc_lo, |v13|, 0.5
	v_fma_f32 v6, v22, v14, v6
	v_fma_f32 v10, -v22, v23, v10
	v_cmp_lt_f32_e64 s2, |v14|, 0.5
	v_fmac_f32_e32 v7, v24, v15
	v_fma_f32 v11, -v24, v25, v11
	v_cmp_lt_f32_e64 s3, |v15|, 0.5
	v_cmp_lt_f32_e64 s4, |v12|, 0.5
	v_cndmask_b32_e32 v5, v9, v5, vcc_lo
	v_cndmask_b32_e64 v6, v10, v6, s2
	s_and_b32 s2, exec_lo, s25
	v_cndmask_b32_e64 v7, v11, v7, s3
	v_cndmask_b32_e64 v4, v8, v4, s4
	s_or_b32 s22, s2, s22
	global_store_b128 v[16:17], v[4:7], off
	s_and_not1_b32 exec_lo, exec_lo, s22
	s_cbranch_execnz .LBB7_3
.LBB7_4:
	s_or_b32 exec_lo, exec_lo, s21
	s_mov_b32 s2, 0
.LBB7_5:
	s_delay_alu instid0(SALU_CYCLE_1)
	s_and_not1_b32 vcc_lo, exec_lo, s2
	s_cbranch_vccnz .LBB7_33
; %bb.6:
	v_cmp_lt_i64_e64 s2, s[8:9], 1
	s_delay_alu instid0(VALU_DEP_1)
	s_and_b32 vcc_lo, exec_lo, s2
	s_cbranch_vccnz .LBB7_33
; %bb.7:
	s_load_b32 s0, s[0:1], 0xc5c
	v_dual_mov_b32 v14, 0 :: v_dual_lshlrev_b32 v13, 2, v0
	v_cmp_gt_u64_e64 s1, 0x10000, s[8:9]
	s_delay_alu instid0(VALU_DEP_2) | instskip(NEXT) | instid1(VALU_DEP_1)
	v_add_co_u32 v1, s2, s10, v13
	v_add_co_ci_u32_e64 v2, null, s11, 0, s2
	v_add_co_u32 v3, s2, s12, v13
	s_delay_alu instid0(VALU_DEP_1) | instskip(SKIP_1) | instid1(VALU_DEP_1)
	v_add_co_ci_u32_e64 v4, null, s13, 0, s2
	v_add_co_u32 v5, s2, s14, v13
	v_add_co_ci_u32_e64 v6, null, s15, 0, s2
	s_waitcnt lgkmcnt(0)
	s_and_b32 s0, s0, 0xffff
	s_and_b32 s1, s1, exec_lo
	v_mad_u64_u32 v[11:12], null, s0, 12, v[13:14]
	s_cselect_b32 s5, s9, 0
	s_cselect_b32 s4, s8, 0x10000
	s_mul_i32 s2, s0, 3
	s_lshl_b32 s3, s0, 3
	s_lshl_b32 s1, s0, 1
	v_add_co_u32 v20, s3, s3, v13
	v_add_co_u32 v13, s2, s2, v0
	v_add_co_u32 v7, vcc_lo, s10, v11
	v_add_co_ci_u32_e64 v14, null, 0, 0, s2
	v_add_co_u32 v19, s2, v0, s0
	v_add_co_ci_u32_e32 v8, vcc_lo, s11, v12, vcc_lo
	v_add_co_u32 v9, vcc_lo, s12, v11
	v_add_co_ci_u32_e32 v10, vcc_lo, s13, v12, vcc_lo
	v_add_co_u32 v11, vcc_lo, s14, v11
	v_add_co_ci_u32_e64 v21, null, 0, 0, s3
	v_lshlrev_b32_e32 v29, 2, v19
	v_add_co_ci_u32_e32 v12, vcc_lo, s15, v12, vcc_lo
	v_add_co_u32 v15, vcc_lo, s10, v20
	v_add_co_u32 v23, s1, s1, v0
	v_add_co_ci_u32_e32 v16, vcc_lo, s11, v21, vcc_lo
	v_add_co_ci_u32_e64 v24, null, 0, 0, s1
	v_add_co_u32 v25, s1, s10, v29
	v_add_co_u32 v17, vcc_lo, s12, v20
	v_add_co_ci_u32_e64 v26, null, s11, 0, s1
	v_add_co_u32 v27, s1, s12, v29
	v_add_co_ci_u32_e32 v18, vcc_lo, s13, v21, vcc_lo
	v_add_co_u32 v20, vcc_lo, s14, v20
	v_add_co_ci_u32_e64 v28, null, s13, 0, s1
	v_add_co_u32 v29, s1, s14, v29
	v_add_co_ci_u32_e32 v21, vcc_lo, s15, v21, vcc_lo
	v_add_co_ci_u32_e64 v22, null, 0, 0, s2
	v_add_co_ci_u32_e64 v30, null, s15, 0, s1
	s_lshl_b32 s12, s0, 2
	s_lshl_b32 s13, s0, 4
	s_mov_b64 s[10:11], 0
	s_branch .LBB7_9
.LBB7_8:                                ;   in Loop: Header=BB7_9 Depth=1
	s_or_b32 exec_lo, exec_lo, s0
	v_add_co_u32 v1, vcc_lo, v1, s13
	v_add_co_ci_u32_e32 v2, vcc_lo, 0, v2, vcc_lo
	v_add_co_u32 v3, vcc_lo, v3, s13
	v_add_co_ci_u32_e32 v4, vcc_lo, 0, v4, vcc_lo
	;; [unrolled: 2-line block ×9, first 2 shown]
	s_add_u32 s10, s10, s12
	v_add_co_u32 v25, vcc_lo, v25, s13
	s_addc_u32 s11, s11, 0
	v_add_co_ci_u32_e32 v26, vcc_lo, 0, v26, vcc_lo
	v_cmp_ge_i64_e64 s0, s[10:11], s[8:9]
	v_cmp_lt_u64_e64 s1, 0xffff, s[10:11]
	v_add_co_u32 v27, vcc_lo, v27, s13
	v_add_co_ci_u32_e32 v28, vcc_lo, 0, v28, vcc_lo
	v_add_co_u32 v29, vcc_lo, v29, s13
	v_add_co_ci_u32_e32 v30, vcc_lo, 0, v30, vcc_lo
	s_or_b32 s0, s0, s1
	s_delay_alu instid0(SALU_CYCLE_1)
	s_and_b32 vcc_lo, exec_lo, s0
	s_cbranch_vccnz .LBB7_33
.LBB7_9:                                ; =>This Inner Loop Header: Depth=1
	s_waitcnt vmcnt(1)
	v_add_co_u32 v31, s0, v0, s10
	s_waitcnt vmcnt(0)
	v_add_co_ci_u32_e64 v32, null, 0, s11, s0
	s_delay_alu instid0(VALU_DEP_1)
	v_cmp_gt_u64_e32 vcc_lo, s[4:5], v[31:32]
	v_dual_mov_b32 v31, 0 :: v_dual_mov_b32 v32, 0
	s_and_saveexec_b32 s1, vcc_lo
	s_cbranch_execz .LBB7_11
; %bb.10:                               ;   in Loop: Header=BB7_9 Depth=1
	v_add_co_u32 v31, s0, v1, s6
	s_delay_alu instid0(VALU_DEP_1) | instskip(SKIP_1) | instid1(VALU_DEP_1)
	v_add_co_ci_u32_e64 v32, s0, s7, v2, s0
	v_add_co_u32 v33, s0, v3, s6
	v_add_co_ci_u32_e64 v34, s0, s7, v4, s0
	global_load_b32 v31, v[31:32], off
	global_load_b32 v32, v[33:34], off
.LBB7_11:                               ;   in Loop: Header=BB7_9 Depth=1
	s_or_b32 exec_lo, exec_lo, s1
	v_dual_mov_b32 v33, 0 :: v_dual_mov_b32 v34, 0
	s_and_saveexec_b32 s1, vcc_lo
	s_cbranch_execz .LBB7_13
; %bb.12:                               ;   in Loop: Header=BB7_9 Depth=1
	v_add_co_u32 v34, s0, v5, s6
	s_delay_alu instid0(VALU_DEP_1)
	v_add_co_ci_u32_e64 v35, s0, s7, v6, s0
	global_load_b32 v34, v[34:35], off
.LBB7_13:                               ;   in Loop: Header=BB7_9 Depth=1
	s_or_b32 exec_lo, exec_lo, s1
	v_add_co_u32 v35, s0, v19, s10
	s_delay_alu instid0(VALU_DEP_1) | instskip(NEXT) | instid1(VALU_DEP_1)
	v_add_co_ci_u32_e64 v36, s0, s11, v22, s0
	v_cmp_gt_u64_e64 s0, s[4:5], v[35:36]
	v_mov_b32_e32 v35, 0
	s_delay_alu instid0(VALU_DEP_2)
	s_and_saveexec_b32 s2, s0
	s_cbranch_execz .LBB7_15
; %bb.14:                               ;   in Loop: Header=BB7_9 Depth=1
	v_add_co_u32 v35, s1, v25, s6
	s_delay_alu instid0(VALU_DEP_1) | instskip(SKIP_1) | instid1(VALU_DEP_1)
	v_add_co_ci_u32_e64 v36, s1, s7, v26, s1
	v_add_co_u32 v37, s1, v27, s6
	v_add_co_ci_u32_e64 v38, s1, s7, v28, s1
	global_load_b32 v33, v[35:36], off
	global_load_b32 v35, v[37:38], off
.LBB7_15:                               ;   in Loop: Header=BB7_9 Depth=1
	s_or_b32 exec_lo, exec_lo, s2
	v_dual_mov_b32 v36, 0 :: v_dual_mov_b32 v37, 0
	s_and_saveexec_b32 s2, s0
	s_cbranch_execz .LBB7_17
; %bb.16:                               ;   in Loop: Header=BB7_9 Depth=1
	v_add_co_u32 v37, s1, v29, s6
	s_delay_alu instid0(VALU_DEP_1)
	v_add_co_ci_u32_e64 v38, s1, s7, v30, s1
	global_load_b32 v37, v[37:38], off
.LBB7_17:                               ;   in Loop: Header=BB7_9 Depth=1
	s_or_b32 exec_lo, exec_lo, s2
	v_add_co_u32 v38, s1, v23, s10
	s_delay_alu instid0(VALU_DEP_1) | instskip(NEXT) | instid1(VALU_DEP_1)
	v_add_co_ci_u32_e64 v39, s1, s11, v24, s1
	v_cmp_gt_u64_e64 s1, s[4:5], v[38:39]
	v_mov_b32_e32 v38, 0
	s_delay_alu instid0(VALU_DEP_2)
	s_and_saveexec_b32 s3, s1
	s_cbranch_execz .LBB7_19
; %bb.18:                               ;   in Loop: Header=BB7_9 Depth=1
	v_add_co_u32 v38, s2, v15, s6
	s_delay_alu instid0(VALU_DEP_1) | instskip(SKIP_1) | instid1(VALU_DEP_1)
	v_add_co_ci_u32_e64 v39, s2, s7, v16, s2
	v_add_co_u32 v40, s2, v17, s6
	v_add_co_ci_u32_e64 v41, s2, s7, v18, s2
	global_load_b32 v36, v[38:39], off
	global_load_b32 v38, v[40:41], off
.LBB7_19:                               ;   in Loop: Header=BB7_9 Depth=1
	s_or_b32 exec_lo, exec_lo, s3
	v_dual_mov_b32 v39, 0 :: v_dual_mov_b32 v40, 0
	s_and_saveexec_b32 s3, s1
	s_cbranch_execz .LBB7_21
; %bb.20:                               ;   in Loop: Header=BB7_9 Depth=1
	v_add_co_u32 v40, s2, v20, s6
	s_delay_alu instid0(VALU_DEP_1)
	v_add_co_ci_u32_e64 v41, s2, s7, v21, s2
	global_load_b32 v40, v[40:41], off
.LBB7_21:                               ;   in Loop: Header=BB7_9 Depth=1
	s_or_b32 exec_lo, exec_lo, s3
	v_add_co_u32 v41, s2, v13, s10
	s_delay_alu instid0(VALU_DEP_1) | instskip(NEXT) | instid1(VALU_DEP_1)
	v_add_co_ci_u32_e64 v42, s2, s11, v14, s2
	v_cmp_gt_u64_e64 s2, s[4:5], v[41:42]
	v_mov_b32_e32 v41, 0
	s_delay_alu instid0(VALU_DEP_2)
	s_and_saveexec_b32 s14, s2
	s_cbranch_execnz .LBB7_27
; %bb.22:                               ;   in Loop: Header=BB7_9 Depth=1
	s_or_b32 exec_lo, exec_lo, s14
	v_mov_b32_e32 v42, 0
	s_and_saveexec_b32 s14, s2
	s_cbranch_execnz .LBB7_28
.LBB7_23:                               ;   in Loop: Header=BB7_9 Depth=1
	s_or_b32 exec_lo, exec_lo, s14
	s_and_saveexec_b32 s3, vcc_lo
	s_cbranch_execnz .LBB7_29
.LBB7_24:                               ;   in Loop: Header=BB7_9 Depth=1
	s_or_b32 exec_lo, exec_lo, s3
	s_and_saveexec_b32 s3, s0
	s_cbranch_execnz .LBB7_30
.LBB7_25:                               ;   in Loop: Header=BB7_9 Depth=1
	s_or_b32 exec_lo, exec_lo, s3
	s_and_saveexec_b32 s0, s1
	s_cbranch_execnz .LBB7_31
.LBB7_26:                               ;   in Loop: Header=BB7_9 Depth=1
	s_or_b32 exec_lo, exec_lo, s0
	s_and_saveexec_b32 s0, s2
	s_cbranch_execz .LBB7_8
	s_branch .LBB7_32
.LBB7_27:                               ;   in Loop: Header=BB7_9 Depth=1
	v_add_co_u32 v41, s3, v7, s6
	s_delay_alu instid0(VALU_DEP_1) | instskip(SKIP_1) | instid1(VALU_DEP_1)
	v_add_co_ci_u32_e64 v42, s3, s7, v8, s3
	v_add_co_u32 v43, s3, v9, s6
	v_add_co_ci_u32_e64 v44, s3, s7, v10, s3
	global_load_b32 v39, v[41:42], off
	global_load_b32 v41, v[43:44], off
	s_or_b32 exec_lo, exec_lo, s14
	v_mov_b32_e32 v42, 0
	s_and_saveexec_b32 s14, s2
	s_cbranch_execz .LBB7_23
.LBB7_28:                               ;   in Loop: Header=BB7_9 Depth=1
	v_add_co_u32 v42, s3, v11, s6
	s_delay_alu instid0(VALU_DEP_1)
	v_add_co_ci_u32_e64 v43, s3, s7, v12, s3
	global_load_b32 v42, v[42:43], off
	s_or_b32 exec_lo, exec_lo, s14
	s_and_saveexec_b32 s3, vcc_lo
	s_cbranch_execz .LBB7_24
.LBB7_29:                               ;   in Loop: Header=BB7_9 Depth=1
	s_waitcnt vmcnt(0)
	v_dual_sub_f32 v43, v32, v31 :: v_dual_sub_f32 v44, 1.0, v34
	s_delay_alu instid0(VALU_DEP_1) | instskip(NEXT) | instid1(VALU_DEP_2)
	v_fmac_f32_e32 v31, v43, v34
	v_fma_f32 v32, -v43, v44, v32
	v_add_co_u32 v43, vcc_lo, v1, s6
	v_add_co_ci_u32_e32 v44, vcc_lo, s7, v2, vcc_lo
	v_cmp_lt_f32_e64 vcc_lo, |v34|, 0.5
	s_delay_alu instid0(VALU_DEP_4)
	v_cndmask_b32_e32 v31, v32, v31, vcc_lo
	global_store_b32 v[43:44], v31, off
	s_or_b32 exec_lo, exec_lo, s3
	s_and_saveexec_b32 s3, s0
	s_cbranch_execz .LBB7_25
.LBB7_30:                               ;   in Loop: Header=BB7_9 Depth=1
	s_waitcnt vmcnt(0)
	v_sub_f32_e32 v31, v35, v33
	v_sub_f32_e32 v32, 1.0, v37
	v_cmp_lt_f32_e64 vcc_lo, |v37|, 0.5
	s_delay_alu instid0(VALU_DEP_3) | instskip(NEXT) | instid1(VALU_DEP_3)
	v_fmac_f32_e32 v33, v31, v37
	v_fma_f32 v31, -v31, v32, v35
	s_delay_alu instid0(VALU_DEP_1)
	v_cndmask_b32_e32 v33, v31, v33, vcc_lo
	v_add_co_u32 v31, vcc_lo, v25, s6
	v_add_co_ci_u32_e32 v32, vcc_lo, s7, v26, vcc_lo
	global_store_b32 v[31:32], v33, off
	s_or_b32 exec_lo, exec_lo, s3
	s_and_saveexec_b32 s0, s1
	s_cbranch_execz .LBB7_26
.LBB7_31:                               ;   in Loop: Header=BB7_9 Depth=1
	s_waitcnt vmcnt(0)
	v_sub_f32_e32 v31, v38, v36
	v_sub_f32_e32 v32, 1.0, v40
	v_cmp_lt_f32_e64 vcc_lo, |v40|, 0.5
	s_delay_alu instid0(VALU_DEP_3) | instskip(NEXT) | instid1(VALU_DEP_3)
	v_fmac_f32_e32 v36, v31, v40
	v_fma_f32 v31, -v31, v32, v38
	s_delay_alu instid0(VALU_DEP_1)
	v_cndmask_b32_e32 v33, v31, v36, vcc_lo
	v_add_co_u32 v31, vcc_lo, v15, s6
	v_add_co_ci_u32_e32 v32, vcc_lo, s7, v16, vcc_lo
	global_store_b32 v[31:32], v33, off
	s_or_b32 exec_lo, exec_lo, s0
	s_and_saveexec_b32 s0, s2
	s_cbranch_execz .LBB7_8
.LBB7_32:                               ;   in Loop: Header=BB7_9 Depth=1
	s_waitcnt vmcnt(0)
	v_dual_sub_f32 v31, v41, v39 :: v_dual_sub_f32 v32, 1.0, v42
	v_cmp_lt_f32_e64 vcc_lo, |v42|, 0.5
	s_delay_alu instid0(VALU_DEP_2) | instskip(NEXT) | instid1(VALU_DEP_3)
	v_fmac_f32_e32 v39, v31, v42
	v_fma_f32 v31, -v31, v32, v41
	s_delay_alu instid0(VALU_DEP_1)
	v_cndmask_b32_e32 v33, v31, v39, vcc_lo
	v_add_co_u32 v31, vcc_lo, v7, s6
	v_add_co_ci_u32_e32 v32, vcc_lo, s7, v8, vcc_lo
	global_store_b32 v[31:32], v33, off
	s_branch .LBB7_8
.LBB7_33:
	s_nop 0
	s_sendmsg sendmsg(MSG_DEALLOC_VGPRS)
	s_endpgm
	.section	.rodata,"a",@progbits
	.p2align	6, 0x0
	.amdhsa_kernel _ZN2at6native12_GLOBAL__N_125multi_tensor_apply_kernelINS1_18TensorListMetadataILi3EEENS1_20TernaryOpListFunctorIfLi3ELi3ELi0EEEJNS0_11LerpFunctorIfEEEEEvT_T0_DpT1_
		.amdhsa_group_segment_fixed_size 0
		.amdhsa_private_segment_fixed_size 0
		.amdhsa_kernarg_size 3408
		.amdhsa_user_sgpr_count 15
		.amdhsa_user_sgpr_dispatch_ptr 0
		.amdhsa_user_sgpr_queue_ptr 0
		.amdhsa_user_sgpr_kernarg_segment_ptr 1
		.amdhsa_user_sgpr_dispatch_id 0
		.amdhsa_user_sgpr_private_segment_size 0
		.amdhsa_wavefront_size32 1
		.amdhsa_uses_dynamic_stack 0
		.amdhsa_enable_private_segment 0
		.amdhsa_system_sgpr_workgroup_id_x 1
		.amdhsa_system_sgpr_workgroup_id_y 0
		.amdhsa_system_sgpr_workgroup_id_z 0
		.amdhsa_system_sgpr_workgroup_info 0
		.amdhsa_system_vgpr_workitem_id 0
		.amdhsa_next_free_vgpr 45
		.amdhsa_next_free_sgpr 28
		.amdhsa_reserve_vcc 1
		.amdhsa_float_round_mode_32 0
		.amdhsa_float_round_mode_16_64 0
		.amdhsa_float_denorm_mode_32 3
		.amdhsa_float_denorm_mode_16_64 3
		.amdhsa_dx10_clamp 1
		.amdhsa_ieee_mode 1
		.amdhsa_fp16_overflow 0
		.amdhsa_workgroup_processor_mode 1
		.amdhsa_memory_ordered 1
		.amdhsa_forward_progress 0
		.amdhsa_shared_vgpr_count 0
		.amdhsa_exception_fp_ieee_invalid_op 0
		.amdhsa_exception_fp_denorm_src 0
		.amdhsa_exception_fp_ieee_div_zero 0
		.amdhsa_exception_fp_ieee_overflow 0
		.amdhsa_exception_fp_ieee_underflow 0
		.amdhsa_exception_fp_ieee_inexact 0
		.amdhsa_exception_int_div_zero 0
	.end_amdhsa_kernel
	.section	.text._ZN2at6native12_GLOBAL__N_125multi_tensor_apply_kernelINS1_18TensorListMetadataILi3EEENS1_20TernaryOpListFunctorIfLi3ELi3ELi0EEEJNS0_11LerpFunctorIfEEEEEvT_T0_DpT1_,"axG",@progbits,_ZN2at6native12_GLOBAL__N_125multi_tensor_apply_kernelINS1_18TensorListMetadataILi3EEENS1_20TernaryOpListFunctorIfLi3ELi3ELi0EEEJNS0_11LerpFunctorIfEEEEEvT_T0_DpT1_,comdat
.Lfunc_end7:
	.size	_ZN2at6native12_GLOBAL__N_125multi_tensor_apply_kernelINS1_18TensorListMetadataILi3EEENS1_20TernaryOpListFunctorIfLi3ELi3ELi0EEEJNS0_11LerpFunctorIfEEEEEvT_T0_DpT1_, .Lfunc_end7-_ZN2at6native12_GLOBAL__N_125multi_tensor_apply_kernelINS1_18TensorListMetadataILi3EEENS1_20TernaryOpListFunctorIfLi3ELi3ELi0EEEJNS0_11LerpFunctorIfEEEEEvT_T0_DpT1_
                                        ; -- End function
	.section	.AMDGPU.csdata,"",@progbits
; Kernel info:
; codeLenInByte = 2172
; NumSgprs: 30
; NumVgprs: 45
; ScratchSize: 0
; MemoryBound: 0
; FloatMode: 240
; IeeeMode: 1
; LDSByteSize: 0 bytes/workgroup (compile time only)
; SGPRBlocks: 3
; VGPRBlocks: 5
; NumSGPRsForWavesPerEU: 30
; NumVGPRsForWavesPerEU: 45
; Occupancy: 16
; WaveLimiterHint : 0
; COMPUTE_PGM_RSRC2:SCRATCH_EN: 0
; COMPUTE_PGM_RSRC2:USER_SGPR: 15
; COMPUTE_PGM_RSRC2:TRAP_HANDLER: 0
; COMPUTE_PGM_RSRC2:TGID_X_EN: 1
; COMPUTE_PGM_RSRC2:TGID_Y_EN: 0
; COMPUTE_PGM_RSRC2:TGID_Z_EN: 0
; COMPUTE_PGM_RSRC2:TIDIG_COMP_CNT: 0
	.section	.text._ZN2at6native12_GLOBAL__N_125multi_tensor_apply_kernelINS1_18TensorListMetadataILi3EEENS1_20TernaryOpListFunctorIN3c107complexIdEELi3ELi3ELi0EEEJNS0_11LerpFunctorIS8_EEEEEvT_T0_DpT1_,"axG",@progbits,_ZN2at6native12_GLOBAL__N_125multi_tensor_apply_kernelINS1_18TensorListMetadataILi3EEENS1_20TernaryOpListFunctorIN3c107complexIdEELi3ELi3ELi0EEEJNS0_11LerpFunctorIS8_EEEEEvT_T0_DpT1_,comdat
	.globl	_ZN2at6native12_GLOBAL__N_125multi_tensor_apply_kernelINS1_18TensorListMetadataILi3EEENS1_20TernaryOpListFunctorIN3c107complexIdEELi3ELi3ELi0EEEJNS0_11LerpFunctorIS8_EEEEEvT_T0_DpT1_ ; -- Begin function _ZN2at6native12_GLOBAL__N_125multi_tensor_apply_kernelINS1_18TensorListMetadataILi3EEENS1_20TernaryOpListFunctorIN3c107complexIdEELi3ELi3ELi0EEEJNS0_11LerpFunctorIS8_EEEEEvT_T0_DpT1_
	.p2align	8
	.type	_ZN2at6native12_GLOBAL__N_125multi_tensor_apply_kernelINS1_18TensorListMetadataILi3EEENS1_20TernaryOpListFunctorIN3c107complexIdEELi3ELi3ELi0EEEJNS0_11LerpFunctorIS8_EEEEEvT_T0_DpT1_,@function
_ZN2at6native12_GLOBAL__N_125multi_tensor_apply_kernelINS1_18TensorListMetadataILi3EEENS1_20TernaryOpListFunctorIN3c107complexIdEELi3ELi3ELi0EEEJNS0_11LerpFunctorIS8_EEEEEvT_T0_DpT1_: ; @_ZN2at6native12_GLOBAL__N_125multi_tensor_apply_kernelINS1_18TensorListMetadataILi3EEENS1_20TernaryOpListFunctorIN3c107complexIdEELi3ELi3ELi0EEEJNS0_11LerpFunctorIS8_EEEEEvT_T0_DpT1_
; %bb.0:
	v_mov_b32_e32 v1, s15
	s_add_u32 s2, s0, s15
	s_mul_hi_u32 s3, s15, 3
	s_mul_i32 s15, s15, 3
	s_addc_u32 s4, s1, 0
	global_load_u8 v1, v1, s[0:1] offset:1536
	s_add_u32 s2, s2, s15
	s_addc_u32 s3, s4, s3
	s_mov_b32 s23, 0
	s_load_b32 s2, s[2:3], 0x740
	s_mov_b32 s25, s23
	s_waitcnt vmcnt(0)
	v_readfirstlane_b32 s3, v1
	s_delay_alu instid0(VALU_DEP_1)
	s_lshl_b32 s3, s3, 3
	s_clause 0x3
	s_load_b64 s[12:13], s[0:1], s3 offset:0x0
	s_load_b64 s[14:15], s[0:1], s3 offset:0x180
	;; [unrolled: 1-line block ×4, first 2 shown]
	s_waitcnt lgkmcnt(0)
	s_ashr_i32 s3, s2, 31
	s_delay_alu instid0(SALU_CYCLE_1) | instskip(NEXT) | instid1(SALU_CYCLE_1)
	s_lshl_b64 s[4:5], s[2:3], 20
	s_add_u32 s8, s12, s4
	s_addc_u32 s9, s13, s5
	s_add_u32 s10, s14, s4
	s_addc_u32 s11, s15, s5
	;; [unrolled: 2-line block ×3, first 2 shown]
	s_or_b32 s6, s18, s10
	s_lshl_b64 s[2:3], s[2:3], 16
	s_and_b32 s6, s6, 63
	s_and_b32 s22, s8, 63
	s_cmp_lg_u32 s6, 0
	s_cselect_b32 s26, -1, 0
	s_sub_u32 s6, s20, s2
	s_subb_u32 s7, s21, s3
	s_and_b32 s24, s20, 3
	s_delay_alu instid0(SALU_CYCLE_1) | instskip(NEXT) | instid1(SALU_CYCLE_1)
	s_or_b64 s[2:3], s[22:23], s[24:25]
	s_cmp_lg_u64 s[2:3], 0
	s_cselect_b32 s2, -1, 0
	s_delay_alu instid0(SALU_CYCLE_1) | instskip(NEXT) | instid1(SALU_CYCLE_1)
	s_or_b32 s2, s26, s2
	s_and_not1_b32 vcc_lo, exec_lo, s2
	s_mov_b32 s2, -1
	s_cbranch_vccz .LBB8_21
; %bb.1:
	v_dual_mov_b32 v54, 0 :: v_dual_lshlrev_b32 v53, 2, v0
	s_mov_b32 s20, exec_lo
	s_delay_alu instid0(VALU_DEP_1)
	v_cmpx_gt_i64_e64 s[6:7], v[53:54]
	s_cbranch_execz .LBB8_20
; %bb.2:
	s_load_b32 s2, s[0:1], 0xc5c
	v_lshlrev_b32_e32 v61, 6, v0
	s_mov_b32 s21, 0
	s_waitcnt lgkmcnt(0)
	s_and_b32 s2, s2, 0xffff
	s_delay_alu instid0(SALU_CYCLE_1)
	v_add_lshl_u32 v53, v0, s2, 2
	s_lshl_b32 s22, s2, 2
	s_lshl_b32 s23, s2, 6
	s_branch .LBB8_4
.LBB8_3:                                ;   in Loop: Header=BB8_4 Depth=1
	s_or_b32 exec_lo, exec_lo, s2
	v_cmp_le_i64_e32 vcc_lo, s[6:7], v[53:54]
	v_cmp_lt_u64_e64 s2, 0xffff, v[53:54]
	v_add_co_u32 v53, s3, v53, s22
	s_delay_alu instid0(VALU_DEP_1)
	v_add_co_ci_u32_e64 v54, s3, 0, v54, s3
	s_clause 0x1
	global_store_b128 v[55:56], v[1:4], off
	global_store_b128 v[55:56], v[17:20], off offset:16
	s_or_b32 s2, vcc_lo, s2
	s_add_u32 s8, s8, s23
	s_addc_u32 s9, s9, 0
	s_add_u32 s18, s18, s23
	s_addc_u32 s19, s19, 0
	;; [unrolled: 2-line block ×3, first 2 shown]
	s_and_b32 s2, exec_lo, s2
	s_clause 0x1
	global_store_b128 v[55:56], v[33:36], off offset:32
	global_store_b128 v[55:56], v[21:24], off offset:48
	s_or_b32 s21, s2, s21
	s_delay_alu instid0(SALU_CYCLE_1)
	s_and_not1_b32 exec_lo, exec_lo, s21
	s_cbranch_execz .LBB8_20
.LBB8_4:                                ; =>This Inner Loop Header: Depth=1
	v_add_co_u32 v1, s2, s18, v61
	s_delay_alu instid0(VALU_DEP_1) | instskip(SKIP_1) | instid1(VALU_DEP_1)
	v_add_co_ci_u32_e64 v2, null, s19, 0, s2
	v_add_co_u32 v55, s2, s8, v61
	v_add_co_ci_u32_e64 v56, null, s9, 0, s2
	global_load_b128 v[17:20], v[1:2], off
	v_add_co_u32 v3, s2, s10, v61
	s_delay_alu instid0(VALU_DEP_1)
	v_add_co_ci_u32_e64 v4, null, s11, 0, s2
	global_load_b128 v[45:48], v[55:56], off
	global_load_b128 v[49:52], v[3:4], off
	global_load_b128 v[33:36], v[1:2], off offset:16
	global_load_b128 v[37:40], v[55:56], off offset:16
	;; [unrolled: 1-line block ×3, first 2 shown]
	s_clause 0x1
	global_load_b128 v[9:12], v[55:56], off offset:48
	global_load_b128 v[25:28], v[55:56], off offset:32
	s_clause 0x1
	global_load_b128 v[13:16], v[3:4], off offset:48
	global_load_b128 v[29:32], v[3:4], off offset:32
	;; [unrolled: 3-line block ×3, first 2 shown]
	s_mov_b32 s2, exec_lo
                                        ; implicit-def: $vgpr3_vgpr4
	s_waitcnt vmcnt(9)
	v_add_f64 v[59:60], v[49:50], -v[45:46]
	v_add_f64 v[57:58], v[51:52], -v[47:48]
	v_mul_f64 v[1:2], v[19:20], v[19:20]
	s_delay_alu instid0(VALU_DEP_1) | instskip(NEXT) | instid1(VALU_DEP_1)
	v_fma_f64 v[1:2], v[17:18], v[17:18], v[1:2]
	v_cmpx_ngt_f64_e32 0x3fd00000, v[1:2]
	s_xor_b32 s2, exec_lo, s2
; %bb.5:                                ;   in Loop: Header=BB8_4 Depth=1
	v_add_f64 v[1:2], -v[19:20], 0
	v_add_f64 v[3:4], -v[17:18], 1.0
                                        ; implicit-def: $vgpr19_vgpr20
                                        ; implicit-def: $vgpr45_vgpr46
	s_delay_alu instid0(VALU_DEP_2) | instskip(SKIP_1) | instid1(VALU_DEP_2)
	v_mul_f64 v[17:18], v[57:58], v[1:2]
	v_mul_f64 v[1:2], v[59:60], v[1:2]
	v_fma_f64 v[17:18], v[59:60], v[3:4], -v[17:18]
	s_delay_alu instid0(VALU_DEP_2) | instskip(NEXT) | instid1(VALU_DEP_2)
	v_fma_f64 v[3:4], v[57:58], v[3:4], v[1:2]
                                        ; implicit-def: $vgpr57_vgpr58
                                        ; implicit-def: $vgpr59_vgpr60
	v_add_f64 v[1:2], v[49:50], -v[17:18]
	s_delay_alu instid0(VALU_DEP_2)
	v_add_f64 v[3:4], v[51:52], -v[3:4]
; %bb.6:                                ;   in Loop: Header=BB8_4 Depth=1
	s_and_not1_saveexec_b32 s2, s2
; %bb.7:                                ;   in Loop: Header=BB8_4 Depth=1
	v_mul_f64 v[1:2], v[57:58], v[19:20]
	v_mul_f64 v[3:4], v[59:60], v[19:20]
	s_delay_alu instid0(VALU_DEP_2) | instskip(NEXT) | instid1(VALU_DEP_2)
	v_fma_f64 v[1:2], v[59:60], v[17:18], -v[1:2]
	v_fma_f64 v[3:4], v[57:58], v[17:18], v[3:4]
	s_delay_alu instid0(VALU_DEP_2) | instskip(NEXT) | instid1(VALU_DEP_2)
	v_add_f64 v[1:2], v[45:46], v[1:2]
	v_add_f64 v[3:4], v[47:48], v[3:4]
; %bb.8:                                ;   in Loop: Header=BB8_4 Depth=1
	s_or_b32 exec_lo, exec_lo, s2
	s_waitcnt vmcnt(8)
	v_mul_f64 v[17:18], v[35:36], v[35:36]
	s_waitcnt vmcnt(6)
	v_add_f64 v[47:48], v[41:42], -v[37:38]
	v_add_f64 v[45:46], v[43:44], -v[39:40]
	s_mov_b32 s2, exec_lo
                                        ; implicit-def: $vgpr19_vgpr20
	s_delay_alu instid0(VALU_DEP_3) | instskip(NEXT) | instid1(VALU_DEP_1)
	v_fma_f64 v[17:18], v[33:34], v[33:34], v[17:18]
	v_cmpx_ngt_f64_e32 0x3fd00000, v[17:18]
	s_xor_b32 s2, exec_lo, s2
; %bb.9:                                ;   in Loop: Header=BB8_4 Depth=1
	v_add_f64 v[17:18], -v[35:36], 0
	v_add_f64 v[19:20], -v[33:34], 1.0
                                        ; implicit-def: $vgpr35_vgpr36
                                        ; implicit-def: $vgpr37_vgpr38
	s_delay_alu instid0(VALU_DEP_2) | instskip(SKIP_1) | instid1(VALU_DEP_2)
	v_mul_f64 v[33:34], v[45:46], v[17:18]
	v_mul_f64 v[17:18], v[47:48], v[17:18]
	v_fma_f64 v[33:34], v[47:48], v[19:20], -v[33:34]
	s_delay_alu instid0(VALU_DEP_2) | instskip(NEXT) | instid1(VALU_DEP_2)
	v_fma_f64 v[19:20], v[45:46], v[19:20], v[17:18]
                                        ; implicit-def: $vgpr45_vgpr46
                                        ; implicit-def: $vgpr47_vgpr48
	v_add_f64 v[17:18], v[41:42], -v[33:34]
	s_delay_alu instid0(VALU_DEP_2)
	v_add_f64 v[19:20], v[43:44], -v[19:20]
; %bb.10:                               ;   in Loop: Header=BB8_4 Depth=1
	s_and_not1_saveexec_b32 s2, s2
; %bb.11:                               ;   in Loop: Header=BB8_4 Depth=1
	v_mul_f64 v[17:18], v[45:46], v[35:36]
	v_mul_f64 v[19:20], v[47:48], v[35:36]
	s_delay_alu instid0(VALU_DEP_2) | instskip(NEXT) | instid1(VALU_DEP_2)
	v_fma_f64 v[17:18], v[47:48], v[33:34], -v[17:18]
	v_fma_f64 v[19:20], v[45:46], v[33:34], v[19:20]
	s_delay_alu instid0(VALU_DEP_2) | instskip(NEXT) | instid1(VALU_DEP_2)
	v_add_f64 v[17:18], v[37:38], v[17:18]
	v_add_f64 v[19:20], v[39:40], v[19:20]
; %bb.12:                               ;   in Loop: Header=BB8_4 Depth=1
	s_or_b32 exec_lo, exec_lo, s2
	s_waitcnt vmcnt(0)
	v_mul_f64 v[33:34], v[23:24], v[23:24]
	v_add_f64 v[39:40], v[29:30], -v[25:26]
	v_add_f64 v[37:38], v[31:32], -v[27:28]
	s_mov_b32 s2, exec_lo
                                        ; implicit-def: $vgpr35_vgpr36
	s_delay_alu instid0(VALU_DEP_3) | instskip(NEXT) | instid1(VALU_DEP_1)
	v_fma_f64 v[33:34], v[21:22], v[21:22], v[33:34]
	v_cmpx_ngt_f64_e32 0x3fd00000, v[33:34]
	s_xor_b32 s2, exec_lo, s2
; %bb.13:                               ;   in Loop: Header=BB8_4 Depth=1
	v_add_f64 v[23:24], -v[23:24], 0
	v_add_f64 v[21:22], -v[21:22], 1.0
	s_delay_alu instid0(VALU_DEP_2) | instskip(SKIP_1) | instid1(VALU_DEP_2)
	v_mul_f64 v[25:26], v[37:38], v[23:24]
	v_mul_f64 v[23:24], v[39:40], v[23:24]
	v_fma_f64 v[25:26], v[39:40], v[21:22], -v[25:26]
	s_delay_alu instid0(VALU_DEP_2) | instskip(NEXT) | instid1(VALU_DEP_2)
	v_fma_f64 v[21:22], v[37:38], v[21:22], v[23:24]
                                        ; implicit-def: $vgpr37_vgpr38
                                        ; implicit-def: $vgpr23_vgpr24
                                        ; implicit-def: $vgpr39_vgpr40
	v_add_f64 v[33:34], v[29:30], -v[25:26]
	s_delay_alu instid0(VALU_DEP_2)
	v_add_f64 v[35:36], v[31:32], -v[21:22]
                                        ; implicit-def: $vgpr25_vgpr26
; %bb.14:                               ;   in Loop: Header=BB8_4 Depth=1
	s_and_not1_saveexec_b32 s2, s2
; %bb.15:                               ;   in Loop: Header=BB8_4 Depth=1
	v_mul_f64 v[29:30], v[37:38], v[23:24]
	v_mul_f64 v[23:24], v[39:40], v[23:24]
	s_delay_alu instid0(VALU_DEP_2) | instskip(NEXT) | instid1(VALU_DEP_2)
	v_fma_f64 v[29:30], v[39:40], v[21:22], -v[29:30]
	v_fma_f64 v[21:22], v[37:38], v[21:22], v[23:24]
	s_delay_alu instid0(VALU_DEP_2) | instskip(NEXT) | instid1(VALU_DEP_2)
	v_add_f64 v[33:34], v[25:26], v[29:30]
	v_add_f64 v[35:36], v[27:28], v[21:22]
; %bb.16:                               ;   in Loop: Header=BB8_4 Depth=1
	s_or_b32 exec_lo, exec_lo, s2
	v_mul_f64 v[21:22], v[7:8], v[7:8]
	v_add_f64 v[27:28], v[13:14], -v[9:10]
	v_add_f64 v[25:26], v[15:16], -v[11:12]
	s_mov_b32 s2, exec_lo
                                        ; implicit-def: $vgpr23_vgpr24
	s_delay_alu instid0(VALU_DEP_3) | instskip(NEXT) | instid1(VALU_DEP_1)
	v_fma_f64 v[21:22], v[5:6], v[5:6], v[21:22]
	v_cmpx_ngt_f64_e32 0x3fd00000, v[21:22]
	s_xor_b32 s2, exec_lo, s2
; %bb.17:                               ;   in Loop: Header=BB8_4 Depth=1
	v_add_f64 v[7:8], -v[7:8], 0
	v_add_f64 v[5:6], -v[5:6], 1.0
	s_delay_alu instid0(VALU_DEP_2) | instskip(SKIP_1) | instid1(VALU_DEP_2)
	v_mul_f64 v[9:10], v[25:26], v[7:8]
	v_mul_f64 v[7:8], v[27:28], v[7:8]
	v_fma_f64 v[9:10], v[27:28], v[5:6], -v[9:10]
	s_delay_alu instid0(VALU_DEP_2) | instskip(NEXT) | instid1(VALU_DEP_2)
	v_fma_f64 v[5:6], v[25:26], v[5:6], v[7:8]
                                        ; implicit-def: $vgpr25_vgpr26
                                        ; implicit-def: $vgpr7_vgpr8
                                        ; implicit-def: $vgpr27_vgpr28
	v_add_f64 v[21:22], v[13:14], -v[9:10]
	s_delay_alu instid0(VALU_DEP_2)
	v_add_f64 v[23:24], v[15:16], -v[5:6]
                                        ; implicit-def: $vgpr9_vgpr10
; %bb.18:                               ;   in Loop: Header=BB8_4 Depth=1
	s_and_not1_saveexec_b32 s2, s2
	s_cbranch_execz .LBB8_3
; %bb.19:                               ;   in Loop: Header=BB8_4 Depth=1
	v_mul_f64 v[13:14], v[25:26], v[7:8]
	v_mul_f64 v[7:8], v[27:28], v[7:8]
	s_delay_alu instid0(VALU_DEP_2) | instskip(NEXT) | instid1(VALU_DEP_2)
	v_fma_f64 v[13:14], v[27:28], v[5:6], -v[13:14]
	v_fma_f64 v[5:6], v[25:26], v[5:6], v[7:8]
	s_delay_alu instid0(VALU_DEP_2) | instskip(NEXT) | instid1(VALU_DEP_2)
	v_add_f64 v[21:22], v[9:10], v[13:14]
	v_add_f64 v[23:24], v[11:12], v[5:6]
	s_branch .LBB8_3
.LBB8_20:
	s_or_b32 exec_lo, exec_lo, s20
	s_mov_b32 s2, 0
.LBB8_21:
	s_delay_alu instid0(SALU_CYCLE_1)
	s_and_not1_b32 vcc_lo, exec_lo, s2
	s_cbranch_vccnz .LBB8_65
; %bb.22:
	v_cmp_lt_i64_e64 s2, s[6:7], 1
	s_delay_alu instid0(VALU_DEP_1)
	s_and_b32 vcc_lo, exec_lo, s2
	s_cbranch_vccnz .LBB8_65
; %bb.23:
	s_load_b32 s0, s[0:1], 0xc5c
	v_dual_mov_b32 v1, 0 :: v_dual_lshlrev_b32 v6, 4, v0
	v_cmp_gt_u64_e64 s1, 0x10000, s[6:7]
	s_mov_b32 s9, 0
	s_delay_alu instid0(VALU_DEP_2) | instskip(NEXT) | instid1(VALU_DEP_3)
	v_or_b32_e32 v2, 8, v6
	v_mov_b32_e32 v3, v1
	s_delay_alu instid0(VALU_DEP_2) | instskip(NEXT) | instid1(VALU_DEP_1)
	v_add_co_u32 v58, s2, s14, v2
	v_add_co_ci_u32_e64 v59, null, s15, 0, s2
	v_add_co_u32 v60, s2, s12, v2
	s_delay_alu instid0(VALU_DEP_1)
	v_add_co_ci_u32_e64 v61, null, s13, 0, s2
	s_waitcnt lgkmcnt(0)
	s_and_b32 s18, s0, 0xffff
	s_and_b32 s0, s1, exec_lo
	v_add_lshl_u32 v7, v0, s18, 4
	v_mad_u64_u32 v[4:5], null, s18, 48, v[2:3]
	s_cselect_b32 s11, s7, 0
	s_cselect_b32 s10, s6, 0x10000
	s_delay_alu instid0(VALU_DEP_2) | instskip(NEXT) | instid1(VALU_DEP_1)
	v_add_co_u32 v62, s0, s16, v7
	v_add_co_ci_u32_e64 v63, null, s17, 0, s0
	v_add_co_u32 v64, s0, s16, v2
	s_delay_alu instid0(VALU_DEP_1) | instskip(SKIP_1) | instid1(VALU_DEP_1)
	v_add_co_ci_u32_e64 v65, null, s17, 0, s0
	v_add_co_u32 v66, s0, s12, v7
	v_add_co_ci_u32_e64 v67, null, s13, 0, s0
	v_add_co_u32 v70, s0, s14, v7
	v_add_co_u32 v68, vcc_lo, s14, v4
	v_add_co_ci_u32_e64 v71, null, s15, 0, s0
	s_lshl_b32 s0, s18, 5
	v_add_co_ci_u32_e32 v69, vcc_lo, s15, v5, vcc_lo
	v_add_co_u32 v2, s0, s0, v6
	v_add_co_u32 v72, vcc_lo, s12, v4
	v_add_co_ci_u32_e32 v73, vcc_lo, s13, v5, vcc_lo
	v_add_co_u32 v74, vcc_lo, s16, v4
	v_add_co_ci_u32_e64 v3, null, 0, 0, s0
	v_or_b32_e32 v4, 8, v2
	v_add_co_ci_u32_e32 v75, vcc_lo, s17, v5, vcc_lo
	v_add_co_u32 v76, vcc_lo, s16, v2
	s_delay_alu instid0(VALU_DEP_4) | instskip(NEXT) | instid1(VALU_DEP_4)
	v_add_co_ci_u32_e32 v77, vcc_lo, s17, v3, vcc_lo
	v_add_co_u32 v78, vcc_lo, s14, v4
	v_add_co_ci_u32_e32 v79, vcc_lo, s15, v3, vcc_lo
	v_add_co_u32 v80, vcc_lo, s12, v4
	v_add_co_ci_u32_e32 v81, vcc_lo, s13, v3, vcc_lo
	s_lshl_b32 s8, s18, 2
	s_lshl_b32 s19, s18, 1
	s_mul_i32 s20, s18, 3
	s_lshl_b32 s14, s18, 6
	s_mov_b64 s[12:13], s[8:9]
	s_branch .LBB8_25
.LBB8_24:                               ;   in Loop: Header=BB8_25 Depth=1
	s_or_b32 exec_lo, exec_lo, s0
	v_add_co_u32 v0, vcc_lo, v0, s8
	v_add_co_ci_u32_e32 v1, vcc_lo, 0, v1, vcc_lo
	v_add_co_u32 v58, vcc_lo, v58, s14
	v_add_co_ci_u32_e32 v59, vcc_lo, 0, v59, vcc_lo
	;; [unrolled: 2-line block ×11, first 2 shown]
	v_cmp_ge_i64_e64 s0, s[12:13], s[6:7]
	v_cmp_lt_u64_e64 s1, 0xffff, s[12:13]
	v_add_co_u32 v78, vcc_lo, v78, s14
	v_add_co_ci_u32_e32 v79, vcc_lo, 0, v79, vcc_lo
	v_add_co_u32 v80, vcc_lo, v80, s14
	v_add_co_ci_u32_e32 v81, vcc_lo, 0, v81, vcc_lo
	s_or_b32 s0, s0, s1
	s_add_u32 s12, s12, s8
	s_addc_u32 s13, s13, 0
	s_and_b32 vcc_lo, exec_lo, s0
	s_cbranch_vccnz .LBB8_65
.LBB8_25:                               ; =>This Inner Loop Header: Depth=1
	v_mov_b32_e32 v4, 0
	v_mov_b32_e32 v5, 0
	v_cmp_gt_u64_e32 vcc_lo, s[10:11], v[0:1]
	s_delay_alu instid0(VALU_DEP_2)
	v_dual_mov_b32 v25, v5 :: v_dual_mov_b32 v24, v4
	v_dual_mov_b32 v23, v5 :: v_dual_mov_b32 v22, v4
	;; [unrolled: 1-line block ×4, first 2 shown]
	s_and_saveexec_b32 s1, vcc_lo
	s_cbranch_execz .LBB8_27
; %bb.26:                               ;   in Loop: Header=BB8_25 Depth=1
	v_add_co_u32 v2, s0, v60, s4
	s_delay_alu instid0(VALU_DEP_1) | instskip(SKIP_1) | instid1(VALU_DEP_1)
	v_add_co_ci_u32_e64 v3, s0, s5, v61, s0
	v_add_co_u32 v10, s0, v58, s4
	v_add_co_ci_u32_e64 v11, s0, s5, v59, s0
	global_load_b128 v[6:9], v[2:3], off offset:-8
	global_load_b128 v[22:25], v[10:11], off offset:-8
.LBB8_27:                               ;   in Loop: Header=BB8_25 Depth=1
	s_or_b32 exec_lo, exec_lo, s1
	v_dual_mov_b32 v2, v4 :: v_dual_mov_b32 v3, v5
	s_and_saveexec_b32 s1, vcc_lo
	s_cbranch_execz .LBB8_29
; %bb.28:                               ;   in Loop: Header=BB8_25 Depth=1
	v_add_co_u32 v2, s0, v64, s4
	s_delay_alu instid0(VALU_DEP_1)
	v_add_co_ci_u32_e64 v3, s0, s5, v65, s0
	global_load_b128 v[2:5], v[2:3], off offset:-8
.LBB8_29:                               ;   in Loop: Header=BB8_25 Depth=1
	s_or_b32 exec_lo, exec_lo, s1
	v_add_co_u32 v10, s0, s18, v0
	s_delay_alu instid0(VALU_DEP_1) | instskip(SKIP_2) | instid1(VALU_DEP_3)
	v_add_co_ci_u32_e64 v11, s0, 0, v1, s0
	v_mov_b32_e32 v12, 0
	v_mov_b32_e32 v13, 0
	v_cmp_gt_u64_e64 s0, s[10:11], v[10:11]
	s_delay_alu instid0(VALU_DEP_2)
	v_dual_mov_b32 v33, v13 :: v_dual_mov_b32 v32, v12
	v_dual_mov_b32 v31, v13 :: v_dual_mov_b32 v30, v12
	;; [unrolled: 1-line block ×4, first 2 shown]
	s_and_saveexec_b32 s2, s0
	s_cbranch_execz .LBB8_31
; %bb.30:                               ;   in Loop: Header=BB8_25 Depth=1
	v_add_co_u32 v10, s1, v66, s4
	s_delay_alu instid0(VALU_DEP_1) | instskip(SKIP_1) | instid1(VALU_DEP_1)
	v_add_co_ci_u32_e64 v11, s1, s5, v67, s1
	v_add_co_u32 v18, s1, v70, s4
	v_add_co_ci_u32_e64 v19, s1, s5, v71, s1
	global_load_b128 v[14:17], v[10:11], off
	global_load_b128 v[30:33], v[18:19], off
.LBB8_31:                               ;   in Loop: Header=BB8_25 Depth=1
	s_or_b32 exec_lo, exec_lo, s2
	v_dual_mov_b32 v10, v12 :: v_dual_mov_b32 v11, v13
	s_and_saveexec_b32 s2, s0
	s_cbranch_execz .LBB8_33
; %bb.32:                               ;   in Loop: Header=BB8_25 Depth=1
	v_add_co_u32 v10, s1, v62, s4
	s_delay_alu instid0(VALU_DEP_1)
	v_add_co_ci_u32_e64 v11, s1, s5, v63, s1
	global_load_b128 v[10:13], v[10:11], off
.LBB8_33:                               ;   in Loop: Header=BB8_25 Depth=1
	s_or_b32 exec_lo, exec_lo, s2
	v_add_co_u32 v18, s1, s19, v0
	s_delay_alu instid0(VALU_DEP_1) | instskip(SKIP_2) | instid1(VALU_DEP_3)
	v_add_co_ci_u32_e64 v19, s1, 0, v1, s1
	v_mov_b32_e32 v20, 0
	v_mov_b32_e32 v21, 0
	v_cmp_gt_u64_e64 s1, s[10:11], v[18:19]
	s_delay_alu instid0(VALU_DEP_2)
	v_dual_mov_b32 v45, v21 :: v_dual_mov_b32 v44, v20
	v_dual_mov_b32 v43, v21 :: v_dual_mov_b32 v42, v20
	v_dual_mov_b32 v29, v21 :: v_dual_mov_b32 v28, v20
	v_dual_mov_b32 v27, v21 :: v_dual_mov_b32 v26, v20
	s_and_saveexec_b32 s3, s1
	s_cbranch_execz .LBB8_35
; %bb.34:                               ;   in Loop: Header=BB8_25 Depth=1
	v_add_co_u32 v18, s2, v80, s4
	s_delay_alu instid0(VALU_DEP_1) | instskip(SKIP_1) | instid1(VALU_DEP_1)
	v_add_co_ci_u32_e64 v19, s2, s5, v81, s2
	v_add_co_u32 v34, s2, v78, s4
	v_add_co_ci_u32_e64 v35, s2, s5, v79, s2
	global_load_b128 v[26:29], v[18:19], off offset:-8
	global_load_b128 v[42:45], v[34:35], off offset:-8
.LBB8_35:                               ;   in Loop: Header=BB8_25 Depth=1
	s_or_b32 exec_lo, exec_lo, s3
	v_dual_mov_b32 v18, v20 :: v_dual_mov_b32 v19, v21
	s_and_saveexec_b32 s3, s1
	s_cbranch_execz .LBB8_37
; %bb.36:                               ;   in Loop: Header=BB8_25 Depth=1
	v_add_co_u32 v18, s2, v76, s4
	s_delay_alu instid0(VALU_DEP_1)
	v_add_co_ci_u32_e64 v19, s2, s5, v77, s2
	global_load_b128 v[18:21], v[18:19], off
.LBB8_37:                               ;   in Loop: Header=BB8_25 Depth=1
	s_or_b32 exec_lo, exec_lo, s3
	v_add_co_u32 v34, s2, s20, v0
	s_delay_alu instid0(VALU_DEP_1) | instskip(SKIP_2) | instid1(VALU_DEP_3)
	v_add_co_ci_u32_e64 v35, s2, 0, v1, s2
	v_mov_b32_e32 v36, 0
	v_mov_b32_e32 v37, 0
	v_cmp_gt_u64_e64 s2, s[10:11], v[34:35]
	s_delay_alu instid0(VALU_DEP_2)
	v_dual_mov_b32 v49, v37 :: v_dual_mov_b32 v48, v36
	v_dual_mov_b32 v47, v37 :: v_dual_mov_b32 v46, v36
	;; [unrolled: 1-line block ×4, first 2 shown]
	s_and_saveexec_b32 s9, s2
	s_cbranch_execz .LBB8_39
; %bb.38:                               ;   in Loop: Header=BB8_25 Depth=1
	v_add_co_u32 v34, s3, v72, s4
	s_delay_alu instid0(VALU_DEP_1) | instskip(SKIP_1) | instid1(VALU_DEP_1)
	v_add_co_ci_u32_e64 v35, s3, s5, v73, s3
	v_add_co_u32 v46, s3, v68, s4
	v_add_co_ci_u32_e64 v47, s3, s5, v69, s3
	global_load_b128 v[38:41], v[34:35], off offset:-8
	global_load_b128 v[46:49], v[46:47], off offset:-8
.LBB8_39:                               ;   in Loop: Header=BB8_25 Depth=1
	s_or_b32 exec_lo, exec_lo, s9
	v_dual_mov_b32 v34, v36 :: v_dual_mov_b32 v35, v37
	s_and_saveexec_b32 s9, s2
	s_cbranch_execz .LBB8_41
; %bb.40:                               ;   in Loop: Header=BB8_25 Depth=1
	v_add_co_u32 v34, s3, v74, s4
	s_delay_alu instid0(VALU_DEP_1)
	v_add_co_ci_u32_e64 v35, s3, s5, v75, s3
	global_load_b128 v[34:37], v[34:35], off offset:-8
.LBB8_41:                               ;   in Loop: Header=BB8_25 Depth=1
	s_or_b32 exec_lo, exec_lo, s9
	s_waitcnt vmcnt(0)
	v_mul_f64 v[50:51], v[2:3], v[2:3]
	v_add_f64 v[54:55], v[22:23], -v[6:7]
	v_add_f64 v[56:57], v[24:25], -v[8:9]
                                        ; implicit-def: $vgpr52_vgpr53
	s_delay_alu instid0(VALU_DEP_3) | instskip(NEXT) | instid1(VALU_DEP_1)
	v_fma_f64 v[50:51], v[4:5], v[4:5], v[50:51]
	v_cmp_ngt_f64_e64 s3, 0x3fd00000, v[50:51]
	s_delay_alu instid0(VALU_DEP_1) | instskip(NEXT) | instid1(SALU_CYCLE_1)
	s_and_saveexec_b32 s9, s3
	s_xor_b32 s3, exec_lo, s9
; %bb.42:                               ;   in Loop: Header=BB8_25 Depth=1
	v_add_f64 v[4:5], -v[4:5], 0
	v_add_f64 v[2:3], -v[2:3], 1.0
	s_delay_alu instid0(VALU_DEP_2) | instskip(NEXT) | instid1(VALU_DEP_2)
	v_mul_f64 v[6:7], v[56:57], v[4:5]
	v_mul_f64 v[8:9], v[56:57], v[2:3]
                                        ; implicit-def: $vgpr56_vgpr57
	s_delay_alu instid0(VALU_DEP_2) | instskip(NEXT) | instid1(VALU_DEP_2)
	v_fma_f64 v[2:3], v[54:55], v[2:3], -v[6:7]
	v_fma_f64 v[4:5], v[54:55], v[4:5], v[8:9]
                                        ; implicit-def: $vgpr54_vgpr55
                                        ; implicit-def: $vgpr6_vgpr7
	s_delay_alu instid0(VALU_DEP_2) | instskip(NEXT) | instid1(VALU_DEP_2)
	v_add_f64 v[50:51], v[22:23], -v[2:3]
	v_add_f64 v[52:53], v[24:25], -v[4:5]
                                        ; implicit-def: $vgpr4_vgpr5
; %bb.43:                               ;   in Loop: Header=BB8_25 Depth=1
	s_and_not1_saveexec_b32 s3, s3
; %bb.44:                               ;   in Loop: Header=BB8_25 Depth=1
	v_mul_f64 v[22:23], v[56:57], v[4:5]
	v_mul_f64 v[24:25], v[56:57], v[2:3]
	s_delay_alu instid0(VALU_DEP_2) | instskip(NEXT) | instid1(VALU_DEP_2)
	v_fma_f64 v[2:3], v[54:55], v[2:3], -v[22:23]
	v_fma_f64 v[4:5], v[54:55], v[4:5], v[24:25]
	s_delay_alu instid0(VALU_DEP_2) | instskip(NEXT) | instid1(VALU_DEP_2)
	v_add_f64 v[50:51], v[6:7], v[2:3]
	v_add_f64 v[52:53], v[8:9], v[4:5]
; %bb.45:                               ;   in Loop: Header=BB8_25 Depth=1
	s_or_b32 exec_lo, exec_lo, s3
	v_mul_f64 v[2:3], v[10:11], v[10:11]
	v_add_f64 v[6:7], v[30:31], -v[14:15]
	v_add_f64 v[8:9], v[32:33], -v[16:17]
                                        ; implicit-def: $vgpr4_vgpr5
	s_delay_alu instid0(VALU_DEP_3) | instskip(NEXT) | instid1(VALU_DEP_1)
	v_fma_f64 v[2:3], v[12:13], v[12:13], v[2:3]
	v_cmp_ngt_f64_e64 s3, 0x3fd00000, v[2:3]
	s_delay_alu instid0(VALU_DEP_1) | instskip(NEXT) | instid1(SALU_CYCLE_1)
	s_and_saveexec_b32 s9, s3
	s_xor_b32 s3, exec_lo, s9
; %bb.46:                               ;   in Loop: Header=BB8_25 Depth=1
	v_add_f64 v[2:3], -v[12:13], 0
	v_add_f64 v[4:5], -v[10:11], 1.0
                                        ; implicit-def: $vgpr12_vgpr13
                                        ; implicit-def: $vgpr14_vgpr15
	s_delay_alu instid0(VALU_DEP_2) | instskip(NEXT) | instid1(VALU_DEP_2)
	v_mul_f64 v[10:11], v[8:9], v[2:3]
	v_mul_f64 v[8:9], v[8:9], v[4:5]
	s_delay_alu instid0(VALU_DEP_2) | instskip(NEXT) | instid1(VALU_DEP_2)
	v_fma_f64 v[4:5], v[6:7], v[4:5], -v[10:11]
	v_fma_f64 v[6:7], v[6:7], v[2:3], v[8:9]
                                        ; implicit-def: $vgpr8_vgpr9
	s_delay_alu instid0(VALU_DEP_2) | instskip(NEXT) | instid1(VALU_DEP_2)
	v_add_f64 v[2:3], v[30:31], -v[4:5]
	v_add_f64 v[4:5], v[32:33], -v[6:7]
                                        ; implicit-def: $vgpr6_vgpr7
; %bb.47:                               ;   in Loop: Header=BB8_25 Depth=1
	s_and_not1_saveexec_b32 s3, s3
; %bb.48:                               ;   in Loop: Header=BB8_25 Depth=1
	v_mul_f64 v[2:3], v[8:9], v[12:13]
	v_mul_f64 v[4:5], v[8:9], v[10:11]
	s_delay_alu instid0(VALU_DEP_2) | instskip(NEXT) | instid1(VALU_DEP_2)
	v_fma_f64 v[2:3], v[6:7], v[10:11], -v[2:3]
	v_fma_f64 v[4:5], v[6:7], v[12:13], v[4:5]
	s_delay_alu instid0(VALU_DEP_2) | instskip(NEXT) | instid1(VALU_DEP_2)
	v_add_f64 v[2:3], v[14:15], v[2:3]
	v_add_f64 v[4:5], v[16:17], v[4:5]
; %bb.49:                               ;   in Loop: Header=BB8_25 Depth=1
	s_or_b32 exec_lo, exec_lo, s3
	v_mul_f64 v[6:7], v[18:19], v[18:19]
	v_add_f64 v[10:11], v[42:43], -v[26:27]
	v_add_f64 v[12:13], v[44:45], -v[28:29]
                                        ; implicit-def: $vgpr8_vgpr9
	s_delay_alu instid0(VALU_DEP_3) | instskip(NEXT) | instid1(VALU_DEP_1)
	v_fma_f64 v[6:7], v[20:21], v[20:21], v[6:7]
	v_cmp_ngt_f64_e64 s3, 0x3fd00000, v[6:7]
	s_delay_alu instid0(VALU_DEP_1) | instskip(NEXT) | instid1(SALU_CYCLE_1)
	s_and_saveexec_b32 s9, s3
	s_xor_b32 s3, exec_lo, s9
; %bb.50:                               ;   in Loop: Header=BB8_25 Depth=1
	v_add_f64 v[6:7], -v[20:21], 0
	v_add_f64 v[8:9], -v[18:19], 1.0
                                        ; implicit-def: $vgpr20_vgpr21
                                        ; implicit-def: $vgpr26_vgpr27
	s_delay_alu instid0(VALU_DEP_2) | instskip(NEXT) | instid1(VALU_DEP_2)
	v_mul_f64 v[14:15], v[12:13], v[6:7]
	v_mul_f64 v[12:13], v[12:13], v[8:9]
	s_delay_alu instid0(VALU_DEP_2) | instskip(NEXT) | instid1(VALU_DEP_2)
	v_fma_f64 v[8:9], v[10:11], v[8:9], -v[14:15]
	v_fma_f64 v[10:11], v[10:11], v[6:7], v[12:13]
                                        ; implicit-def: $vgpr12_vgpr13
	s_delay_alu instid0(VALU_DEP_2) | instskip(NEXT) | instid1(VALU_DEP_2)
	v_add_f64 v[6:7], v[42:43], -v[8:9]
	v_add_f64 v[8:9], v[44:45], -v[10:11]
                                        ; implicit-def: $vgpr10_vgpr11
; %bb.51:                               ;   in Loop: Header=BB8_25 Depth=1
	s_and_not1_saveexec_b32 s3, s3
; %bb.52:                               ;   in Loop: Header=BB8_25 Depth=1
	v_mul_f64 v[6:7], v[12:13], v[20:21]
	v_mul_f64 v[8:9], v[12:13], v[18:19]
	s_delay_alu instid0(VALU_DEP_2) | instskip(NEXT) | instid1(VALU_DEP_2)
	v_fma_f64 v[6:7], v[10:11], v[18:19], -v[6:7]
	v_fma_f64 v[8:9], v[10:11], v[20:21], v[8:9]
	s_delay_alu instid0(VALU_DEP_2) | instskip(NEXT) | instid1(VALU_DEP_2)
	v_add_f64 v[6:7], v[26:27], v[6:7]
	v_add_f64 v[8:9], v[28:29], v[8:9]
; %bb.53:                               ;   in Loop: Header=BB8_25 Depth=1
	s_or_b32 exec_lo, exec_lo, s3
	v_mul_f64 v[10:11], v[34:35], v[34:35]
	v_add_f64 v[14:15], v[46:47], -v[38:39]
	v_add_f64 v[16:17], v[48:49], -v[40:41]
                                        ; implicit-def: $vgpr12_vgpr13
	s_delay_alu instid0(VALU_DEP_3) | instskip(NEXT) | instid1(VALU_DEP_1)
	v_fma_f64 v[10:11], v[36:37], v[36:37], v[10:11]
	v_cmp_ngt_f64_e64 s3, 0x3fd00000, v[10:11]
	s_delay_alu instid0(VALU_DEP_1) | instskip(NEXT) | instid1(SALU_CYCLE_1)
	s_and_saveexec_b32 s9, s3
	s_xor_b32 s3, exec_lo, s9
	s_cbranch_execnz .LBB8_59
; %bb.54:                               ;   in Loop: Header=BB8_25 Depth=1
	s_and_not1_saveexec_b32 s3, s3
	s_cbranch_execnz .LBB8_60
.LBB8_55:                               ;   in Loop: Header=BB8_25 Depth=1
	s_or_b32 exec_lo, exec_lo, s3
	s_and_saveexec_b32 s3, vcc_lo
	s_delay_alu instid0(SALU_CYCLE_1)
	s_xor_b32 s3, exec_lo, s3
	s_cbranch_execnz .LBB8_61
.LBB8_56:                               ;   in Loop: Header=BB8_25 Depth=1
	s_or_b32 exec_lo, exec_lo, s3
	s_and_saveexec_b32 s3, s0
	s_cbranch_execnz .LBB8_62
.LBB8_57:                               ;   in Loop: Header=BB8_25 Depth=1
	s_or_b32 exec_lo, exec_lo, s3
	s_and_saveexec_b32 s0, s1
	s_cbranch_execnz .LBB8_63
.LBB8_58:                               ;   in Loop: Header=BB8_25 Depth=1
	s_or_b32 exec_lo, exec_lo, s0
	s_and_saveexec_b32 s0, s2
	s_cbranch_execz .LBB8_24
	s_branch .LBB8_64
.LBB8_59:                               ;   in Loop: Header=BB8_25 Depth=1
	v_add_f64 v[10:11], -v[36:37], 0
	v_add_f64 v[12:13], -v[34:35], 1.0
                                        ; implicit-def: $vgpr36_vgpr37
                                        ; implicit-def: $vgpr38_vgpr39
	s_delay_alu instid0(VALU_DEP_2) | instskip(NEXT) | instid1(VALU_DEP_2)
	v_mul_f64 v[18:19], v[16:17], v[10:11]
	v_mul_f64 v[16:17], v[16:17], v[12:13]
	s_delay_alu instid0(VALU_DEP_2) | instskip(NEXT) | instid1(VALU_DEP_2)
	v_fma_f64 v[12:13], v[14:15], v[12:13], -v[18:19]
	v_fma_f64 v[14:15], v[14:15], v[10:11], v[16:17]
                                        ; implicit-def: $vgpr16_vgpr17
	s_delay_alu instid0(VALU_DEP_2) | instskip(NEXT) | instid1(VALU_DEP_2)
	v_add_f64 v[10:11], v[46:47], -v[12:13]
	v_add_f64 v[12:13], v[48:49], -v[14:15]
                                        ; implicit-def: $vgpr14_vgpr15
	s_and_not1_saveexec_b32 s3, s3
	s_cbranch_execz .LBB8_55
.LBB8_60:                               ;   in Loop: Header=BB8_25 Depth=1
	s_delay_alu instid0(VALU_DEP_3) | instskip(SKIP_1) | instid1(VALU_DEP_2)
	v_mul_f64 v[10:11], v[16:17], v[36:37]
	v_mul_f64 v[12:13], v[16:17], v[34:35]
	v_fma_f64 v[10:11], v[14:15], v[34:35], -v[10:11]
	s_delay_alu instid0(VALU_DEP_2) | instskip(NEXT) | instid1(VALU_DEP_2)
	v_fma_f64 v[12:13], v[14:15], v[36:37], v[12:13]
	v_add_f64 v[10:11], v[38:39], v[10:11]
	s_delay_alu instid0(VALU_DEP_2) | instskip(SKIP_2) | instid1(SALU_CYCLE_1)
	v_add_f64 v[12:13], v[40:41], v[12:13]
	s_or_b32 exec_lo, exec_lo, s3
	s_and_saveexec_b32 s3, vcc_lo
	s_xor_b32 s3, exec_lo, s3
	s_cbranch_execz .LBB8_56
.LBB8_61:                               ;   in Loop: Header=BB8_25 Depth=1
	v_add_co_u32 v14, vcc_lo, v60, s4
	v_add_co_ci_u32_e32 v15, vcc_lo, s5, v61, vcc_lo
	global_store_b128 v[14:15], v[50:53], off offset:-8
	s_or_b32 exec_lo, exec_lo, s3
	s_and_saveexec_b32 s3, s0
	s_cbranch_execz .LBB8_57
.LBB8_62:                               ;   in Loop: Header=BB8_25 Depth=1
	v_add_co_u32 v14, vcc_lo, v66, s4
	v_add_co_ci_u32_e32 v15, vcc_lo, s5, v67, vcc_lo
	global_store_b128 v[14:15], v[2:5], off
	s_or_b32 exec_lo, exec_lo, s3
	s_and_saveexec_b32 s0, s1
	s_cbranch_execz .LBB8_58
.LBB8_63:                               ;   in Loop: Header=BB8_25 Depth=1
	v_add_co_u32 v2, vcc_lo, v80, s4
	v_add_co_ci_u32_e32 v3, vcc_lo, s5, v81, vcc_lo
	global_store_b128 v[2:3], v[6:9], off offset:-8
	s_or_b32 exec_lo, exec_lo, s0
	s_and_saveexec_b32 s0, s2
	s_cbranch_execz .LBB8_24
.LBB8_64:                               ;   in Loop: Header=BB8_25 Depth=1
	v_add_co_u32 v2, vcc_lo, v72, s4
	v_add_co_ci_u32_e32 v3, vcc_lo, s5, v73, vcc_lo
	global_store_b128 v[2:3], v[10:13], off offset:-8
	s_branch .LBB8_24
.LBB8_65:
	s_nop 0
	s_sendmsg sendmsg(MSG_DEALLOC_VGPRS)
	s_endpgm
	.section	.rodata,"a",@progbits
	.p2align	6, 0x0
	.amdhsa_kernel _ZN2at6native12_GLOBAL__N_125multi_tensor_apply_kernelINS1_18TensorListMetadataILi3EEENS1_20TernaryOpListFunctorIN3c107complexIdEELi3ELi3ELi0EEEJNS0_11LerpFunctorIS8_EEEEEvT_T0_DpT1_
		.amdhsa_group_segment_fixed_size 0
		.amdhsa_private_segment_fixed_size 0
		.amdhsa_kernarg_size 3408
		.amdhsa_user_sgpr_count 15
		.amdhsa_user_sgpr_dispatch_ptr 0
		.amdhsa_user_sgpr_queue_ptr 0
		.amdhsa_user_sgpr_kernarg_segment_ptr 1
		.amdhsa_user_sgpr_dispatch_id 0
		.amdhsa_user_sgpr_private_segment_size 0
		.amdhsa_wavefront_size32 1
		.amdhsa_uses_dynamic_stack 0
		.amdhsa_enable_private_segment 0
		.amdhsa_system_sgpr_workgroup_id_x 1
		.amdhsa_system_sgpr_workgroup_id_y 0
		.amdhsa_system_sgpr_workgroup_id_z 0
		.amdhsa_system_sgpr_workgroup_info 0
		.amdhsa_system_vgpr_workitem_id 0
		.amdhsa_next_free_vgpr 82
		.amdhsa_next_free_sgpr 27
		.amdhsa_reserve_vcc 1
		.amdhsa_float_round_mode_32 0
		.amdhsa_float_round_mode_16_64 0
		.amdhsa_float_denorm_mode_32 3
		.amdhsa_float_denorm_mode_16_64 3
		.amdhsa_dx10_clamp 1
		.amdhsa_ieee_mode 1
		.amdhsa_fp16_overflow 0
		.amdhsa_workgroup_processor_mode 1
		.amdhsa_memory_ordered 1
		.amdhsa_forward_progress 0
		.amdhsa_shared_vgpr_count 0
		.amdhsa_exception_fp_ieee_invalid_op 0
		.amdhsa_exception_fp_denorm_src 0
		.amdhsa_exception_fp_ieee_div_zero 0
		.amdhsa_exception_fp_ieee_overflow 0
		.amdhsa_exception_fp_ieee_underflow 0
		.amdhsa_exception_fp_ieee_inexact 0
		.amdhsa_exception_int_div_zero 0
	.end_amdhsa_kernel
	.section	.text._ZN2at6native12_GLOBAL__N_125multi_tensor_apply_kernelINS1_18TensorListMetadataILi3EEENS1_20TernaryOpListFunctorIN3c107complexIdEELi3ELi3ELi0EEEJNS0_11LerpFunctorIS8_EEEEEvT_T0_DpT1_,"axG",@progbits,_ZN2at6native12_GLOBAL__N_125multi_tensor_apply_kernelINS1_18TensorListMetadataILi3EEENS1_20TernaryOpListFunctorIN3c107complexIdEELi3ELi3ELi0EEEJNS0_11LerpFunctorIS8_EEEEEvT_T0_DpT1_,comdat
.Lfunc_end8:
	.size	_ZN2at6native12_GLOBAL__N_125multi_tensor_apply_kernelINS1_18TensorListMetadataILi3EEENS1_20TernaryOpListFunctorIN3c107complexIdEELi3ELi3ELi0EEEJNS0_11LerpFunctorIS8_EEEEEvT_T0_DpT1_, .Lfunc_end8-_ZN2at6native12_GLOBAL__N_125multi_tensor_apply_kernelINS1_18TensorListMetadataILi3EEENS1_20TernaryOpListFunctorIN3c107complexIdEELi3ELi3ELi0EEEJNS0_11LerpFunctorIS8_EEEEEvT_T0_DpT1_
                                        ; -- End function
	.section	.AMDGPU.csdata,"",@progbits
; Kernel info:
; codeLenInByte = 3680
; NumSgprs: 29
; NumVgprs: 82
; ScratchSize: 0
; MemoryBound: 1
; FloatMode: 240
; IeeeMode: 1
; LDSByteSize: 0 bytes/workgroup (compile time only)
; SGPRBlocks: 3
; VGPRBlocks: 10
; NumSGPRsForWavesPerEU: 29
; NumVGPRsForWavesPerEU: 82
; Occupancy: 16
; WaveLimiterHint : 0
; COMPUTE_PGM_RSRC2:SCRATCH_EN: 0
; COMPUTE_PGM_RSRC2:USER_SGPR: 15
; COMPUTE_PGM_RSRC2:TRAP_HANDLER: 0
; COMPUTE_PGM_RSRC2:TGID_X_EN: 1
; COMPUTE_PGM_RSRC2:TGID_Y_EN: 0
; COMPUTE_PGM_RSRC2:TGID_Z_EN: 0
; COMPUTE_PGM_RSRC2:TIDIG_COMP_CNT: 0
	.section	.text._ZN2at6native12_GLOBAL__N_125multi_tensor_apply_kernelINS1_18TensorListMetadataILi3EEENS1_20TernaryOpListFunctorIN3c107complexIfEELi3ELi3ELi0EEEJNS0_11LerpFunctorIS8_EEEEEvT_T0_DpT1_,"axG",@progbits,_ZN2at6native12_GLOBAL__N_125multi_tensor_apply_kernelINS1_18TensorListMetadataILi3EEENS1_20TernaryOpListFunctorIN3c107complexIfEELi3ELi3ELi0EEEJNS0_11LerpFunctorIS8_EEEEEvT_T0_DpT1_,comdat
	.globl	_ZN2at6native12_GLOBAL__N_125multi_tensor_apply_kernelINS1_18TensorListMetadataILi3EEENS1_20TernaryOpListFunctorIN3c107complexIfEELi3ELi3ELi0EEEJNS0_11LerpFunctorIS8_EEEEEvT_T0_DpT1_ ; -- Begin function _ZN2at6native12_GLOBAL__N_125multi_tensor_apply_kernelINS1_18TensorListMetadataILi3EEENS1_20TernaryOpListFunctorIN3c107complexIfEELi3ELi3ELi0EEEJNS0_11LerpFunctorIS8_EEEEEvT_T0_DpT1_
	.p2align	8
	.type	_ZN2at6native12_GLOBAL__N_125multi_tensor_apply_kernelINS1_18TensorListMetadataILi3EEENS1_20TernaryOpListFunctorIN3c107complexIfEELi3ELi3ELi0EEEJNS0_11LerpFunctorIS8_EEEEEvT_T0_DpT1_,@function
_ZN2at6native12_GLOBAL__N_125multi_tensor_apply_kernelINS1_18TensorListMetadataILi3EEENS1_20TernaryOpListFunctorIN3c107complexIfEELi3ELi3ELi0EEEJNS0_11LerpFunctorIS8_EEEEEvT_T0_DpT1_: ; @_ZN2at6native12_GLOBAL__N_125multi_tensor_apply_kernelINS1_18TensorListMetadataILi3EEENS1_20TernaryOpListFunctorIN3c107complexIfEELi3ELi3ELi0EEEJNS0_11LerpFunctorIS8_EEEEEvT_T0_DpT1_
; %bb.0:
	v_mov_b32_e32 v1, s15
	s_add_u32 s2, s0, s15
	s_mul_hi_u32 s3, s15, 3
	s_mul_i32 s15, s15, 3
	s_addc_u32 s4, s1, 0
	global_load_u8 v1, v1, s[0:1] offset:1536
	s_add_u32 s2, s2, s15
	s_addc_u32 s3, s4, s3
	s_mov_b32 s23, 0
	s_load_b32 s6, s[2:3], 0x740
	s_mov_b32 s25, s23
	s_waitcnt lgkmcnt(0)
	s_ashr_i32 s7, s6, 31
	s_delay_alu instid0(SALU_CYCLE_1) | instskip(SKIP_2) | instid1(VALU_DEP_1)
	s_lshl_b64 s[4:5], s[6:7], 19
	s_waitcnt vmcnt(0)
	v_readfirstlane_b32 s2, v1
	s_lshl_b32 s2, s2, 3
	s_clause 0x3
	s_load_b64 s[12:13], s[0:1], s2 offset:0x0
	s_load_b64 s[14:15], s[0:1], s2 offset:0x180
	;; [unrolled: 1-line block ×4, first 2 shown]
	s_waitcnt lgkmcnt(0)
	s_add_u32 s3, s12, s4
	s_addc_u32 s8, s13, s5
	s_add_u32 s9, s14, s4
	s_addc_u32 s10, s15, s5
	;; [unrolled: 2-line block ×3, first 2 shown]
	s_or_b32 s2, s11, s9
	s_lshl_b64 s[6:7], s[6:7], 16
	s_and_b32 s2, s2, 31
	s_and_b32 s22, s3, 31
	s_cmp_lg_u32 s2, 0
	s_cselect_b32 s2, -1, 0
	s_sub_u32 s6, s20, s6
	s_subb_u32 s7, s21, s7
	s_and_b32 s24, s20, 3
	s_delay_alu instid0(SALU_CYCLE_1) | instskip(NEXT) | instid1(SALU_CYCLE_1)
	s_or_b64 s[20:21], s[22:23], s[24:25]
	s_cmp_lg_u64 s[20:21], 0
	s_cselect_b32 s19, -1, 0
	s_delay_alu instid0(SALU_CYCLE_1) | instskip(NEXT) | instid1(SALU_CYCLE_1)
	s_or_b32 s2, s2, s19
	s_and_not1_b32 vcc_lo, exec_lo, s2
	s_mov_b32 s2, -1
	s_cbranch_vccz .LBB9_21
; %bb.1:
	v_dual_mov_b32 v30, 0 :: v_dual_lshlrev_b32 v29, 2, v0
	s_mov_b32 s19, exec_lo
	s_delay_alu instid0(VALU_DEP_1)
	v_cmpx_gt_i64_e64 s[6:7], v[29:30]
	s_cbranch_execz .LBB9_20
; %bb.2:
	s_load_b32 s2, s[0:1], 0xc5c
	v_lshlrev_b32_e32 v33, 5, v0
	s_mov_b32 s20, 0
	s_waitcnt lgkmcnt(0)
	s_and_b32 s2, s2, 0xffff
	s_delay_alu instid0(SALU_CYCLE_1)
	v_add_lshl_u32 v29, v0, s2, 2
	s_lshl_b32 s21, s2, 2
	s_lshl_b32 s22, s2, 5
	s_branch .LBB9_4
.LBB9_3:                                ;   in Loop: Header=BB9_4 Depth=1
	s_or_b32 exec_lo, exec_lo, s2
	v_cmp_le_i64_e32 vcc_lo, s[6:7], v[29:30]
	v_cmp_lt_u64_e64 s2, 0xffff, v[29:30]
	s_clause 0x1
	global_store_b128 v[31:32], v[1:4], off
	global_store_b128 v[31:32], v[17:20], off offset:16
	s_or_b32 s2, vcc_lo, s2
	s_add_u32 s3, s3, s22
	s_addc_u32 s8, s8, 0
	s_add_u32 s11, s11, s22
	v_add_co_u32 v29, vcc_lo, v29, s21
	s_addc_u32 s18, s18, 0
	s_add_u32 s9, s9, s22
	v_add_co_ci_u32_e32 v30, vcc_lo, 0, v30, vcc_lo
	s_addc_u32 s10, s10, 0
	s_and_b32 s2, exec_lo, s2
	s_delay_alu instid0(SALU_CYCLE_1) | instskip(NEXT) | instid1(SALU_CYCLE_1)
	s_or_b32 s20, s2, s20
	s_and_not1_b32 exec_lo, exec_lo, s20
	s_cbranch_execz .LBB9_20
.LBB9_4:                                ; =>This Inner Loop Header: Depth=1
	v_add_co_u32 v1, s2, s11, v33
	s_delay_alu instid0(VALU_DEP_1) | instskip(SKIP_1) | instid1(VALU_DEP_1)
	v_add_co_ci_u32_e64 v2, null, s18, 0, s2
	v_add_co_u32 v31, s2, s3, v33
	v_add_co_ci_u32_e64 v32, null, s8, 0, s2
	global_load_b128 v[17:20], v[1:2], off
	v_add_co_u32 v3, s2, s9, v33
	s_delay_alu instid0(VALU_DEP_1)
	v_add_co_ci_u32_e64 v4, null, s10, 0, s2
	global_load_b128 v[21:24], v[31:32], off
	global_load_b128 v[25:28], v[3:4], off
	global_load_b128 v[5:8], v[1:2], off offset:16
	global_load_b128 v[9:12], v[31:32], off offset:16
	;; [unrolled: 1-line block ×3, first 2 shown]
	s_mov_b32 s2, exec_lo
                                        ; implicit-def: $vgpr2
	s_waitcnt vmcnt(3)
	v_dual_mul_f32 v1, v18, v18 :: v_dual_sub_f32 v4, v25, v21
	s_delay_alu instid0(VALU_DEP_1) | instskip(SKIP_1) | instid1(VALU_DEP_2)
	v_fmac_f32_e32 v1, v17, v17
	v_sub_f32_e32 v3, v26, v22
	v_cmpx_ngt_f32_e32 0x3e800000, v1
	s_xor_b32 s2, exec_lo, s2
; %bb.5:                                ;   in Loop: Header=BB9_4 Depth=1
	v_sub_f32_e32 v1, 1.0, v17
	s_delay_alu instid0(VALU_DEP_3) | instskip(SKIP_1) | instid1(VALU_DEP_2)
	v_mul_f32_e64 v2, v3, -v18
	v_mul_f32_e64 v34, v4, -v18
	v_fma_f32 v2, v4, v1, -v2
	s_delay_alu instid0(VALU_DEP_2) | instskip(NEXT) | instid1(VALU_DEP_2)
	v_fmac_f32_e32 v34, v3, v1
                                        ; implicit-def: $vgpr3
                                        ; implicit-def: $vgpr4
	v_sub_f32_e32 v1, v25, v2
	s_delay_alu instid0(VALU_DEP_2)
	v_sub_f32_e32 v2, v26, v34
; %bb.6:                                ;   in Loop: Header=BB9_4 Depth=1
	s_and_not1_saveexec_b32 s2, s2
; %bb.7:                                ;   in Loop: Header=BB9_4 Depth=1
	v_mul_f32_e32 v1, v3, v18
	s_delay_alu instid0(VALU_DEP_1) | instskip(NEXT) | instid1(VALU_DEP_1)
	v_fma_f32 v1, v4, v17, -v1
	v_dual_mul_f32 v2, v4, v18 :: v_dual_add_f32 v1, v21, v1
	s_delay_alu instid0(VALU_DEP_1) | instskip(NEXT) | instid1(VALU_DEP_1)
	v_fmac_f32_e32 v2, v3, v17
	v_add_f32_e32 v2, v22, v2
; %bb.8:                                ;   in Loop: Header=BB9_4 Depth=1
	s_or_b32 exec_lo, exec_lo, s2
	v_mul_f32_e32 v3, v20, v20
	v_sub_f32_e32 v17, v27, v23
	v_sub_f32_e32 v25, v28, v24
	s_mov_b32 s2, exec_lo
	s_delay_alu instid0(VALU_DEP_3) | instskip(NEXT) | instid1(VALU_DEP_1)
	v_fmac_f32_e32 v3, v19, v19
	v_cmpx_ngt_f32_e32 0x3e800000, v3
	s_xor_b32 s2, exec_lo, s2
; %bb.9:                                ;   in Loop: Header=BB9_4 Depth=1
	v_sub_f32_e32 v3, 1.0, v19
	v_mul_f32_e64 v4, v25, -v20
	v_mul_f32_e64 v18, v17, -v20
                                        ; implicit-def: $vgpr21_vgpr22_vgpr23_vgpr24
	s_delay_alu instid0(VALU_DEP_2) | instskip(NEXT) | instid1(VALU_DEP_2)
	v_fma_f32 v4, v17, v3, -v4
	v_fmac_f32_e32 v18, v25, v3
                                        ; implicit-def: $vgpr25
	s_delay_alu instid0(VALU_DEP_1)
	v_dual_sub_f32 v3, v27, v4 :: v_dual_sub_f32 v4, v28, v18
                                        ; implicit-def: $vgpr17_vgpr18_vgpr19_vgpr20
                                        ; implicit-def: $vgpr17
; %bb.10:                               ;   in Loop: Header=BB9_4 Depth=1
	s_and_not1_saveexec_b32 s2, s2
; %bb.11:                               ;   in Loop: Header=BB9_4 Depth=1
	v_mul_f32_e32 v3, v25, v20
	s_delay_alu instid0(VALU_DEP_1) | instskip(NEXT) | instid1(VALU_DEP_1)
	v_fma_f32 v3, v17, v19, -v3
	v_dual_mul_f32 v4, v17, v20 :: v_dual_add_f32 v3, v23, v3
	s_delay_alu instid0(VALU_DEP_1) | instskip(NEXT) | instid1(VALU_DEP_1)
	v_fmac_f32_e32 v4, v25, v19
	v_add_f32_e32 v4, v24, v4
; %bb.12:                               ;   in Loop: Header=BB9_4 Depth=1
	s_or_b32 exec_lo, exec_lo, s2
	s_waitcnt vmcnt(0)
	v_dual_mul_f32 v17, v6, v6 :: v_dual_sub_f32 v20, v13, v9
	v_sub_f32_e32 v19, v14, v10
	s_mov_b32 s2, exec_lo
                                        ; implicit-def: $vgpr18
	s_delay_alu instid0(VALU_DEP_2) | instskip(NEXT) | instid1(VALU_DEP_1)
	v_fmac_f32_e32 v17, v5, v5
	v_cmpx_ngt_f32_e32 0x3e800000, v17
	s_xor_b32 s2, exec_lo, s2
; %bb.13:                               ;   in Loop: Header=BB9_4 Depth=1
	v_sub_f32_e32 v17, 1.0, v5
	v_mul_f32_e64 v18, v19, -v6
	v_mul_f32_e64 v21, v20, -v6
	s_delay_alu instid0(VALU_DEP_2) | instskip(NEXT) | instid1(VALU_DEP_2)
	v_fma_f32 v18, v20, v17, -v18
	v_fmac_f32_e32 v21, v19, v17
                                        ; implicit-def: $vgpr19
                                        ; implicit-def: $vgpr20
	s_delay_alu instid0(VALU_DEP_1)
	v_dual_sub_f32 v17, v13, v18 :: v_dual_sub_f32 v18, v14, v21
; %bb.14:                               ;   in Loop: Header=BB9_4 Depth=1
	s_and_not1_saveexec_b32 s2, s2
; %bb.15:                               ;   in Loop: Header=BB9_4 Depth=1
	v_mul_f32_e32 v13, v19, v6
	s_delay_alu instid0(VALU_DEP_1) | instskip(NEXT) | instid1(VALU_DEP_1)
	v_fma_f32 v13, v20, v5, -v13
	v_dual_mul_f32 v6, v20, v6 :: v_dual_add_f32 v17, v9, v13
	s_delay_alu instid0(VALU_DEP_1) | instskip(NEXT) | instid1(VALU_DEP_1)
	v_fmac_f32_e32 v6, v19, v5
	v_add_f32_e32 v18, v10, v6
; %bb.16:                               ;   in Loop: Header=BB9_4 Depth=1
	s_or_b32 exec_lo, exec_lo, s2
	v_dual_mul_f32 v6, v8, v8 :: v_dual_sub_f32 v5, v15, v11
	s_mov_b32 s2, exec_lo
	s_delay_alu instid0(VALU_DEP_1) | instskip(NEXT) | instid1(VALU_DEP_1)
	v_dual_sub_f32 v13, v16, v12 :: v_dual_fmac_f32 v6, v7, v7
	v_cmpx_ngt_f32_e32 0x3e800000, v6
	s_xor_b32 s2, exec_lo, s2
; %bb.17:                               ;   in Loop: Header=BB9_4 Depth=1
	v_sub_f32_e32 v6, 1.0, v7
	s_delay_alu instid0(VALU_DEP_3) | instskip(SKIP_1) | instid1(VALU_DEP_2)
	v_mul_f32_e64 v7, v13, -v8
	v_mul_f32_e64 v8, v5, -v8
                                        ; implicit-def: $vgpr9_vgpr10_vgpr11_vgpr12
	v_fma_f32 v5, v5, v6, -v7
	s_delay_alu instid0(VALU_DEP_1) | instskip(NEXT) | instid1(VALU_DEP_1)
	v_dual_sub_f32 v19, v15, v5 :: v_dual_fmac_f32 v8, v13, v6
                                        ; implicit-def: $vgpr13
	v_sub_f32_e32 v20, v16, v8
                                        ; implicit-def: $vgpr5_vgpr6_vgpr7_vgpr8
                                        ; implicit-def: $vgpr5
; %bb.18:                               ;   in Loop: Header=BB9_4 Depth=1
	s_and_not1_saveexec_b32 s2, s2
	s_cbranch_execz .LBB9_3
; %bb.19:                               ;   in Loop: Header=BB9_4 Depth=1
	v_mul_f32_e32 v6, v13, v8
	v_mul_f32_e32 v8, v5, v8
	s_delay_alu instid0(VALU_DEP_2) | instskip(NEXT) | instid1(VALU_DEP_1)
	v_fma_f32 v5, v5, v7, -v6
	v_dual_fmac_f32 v8, v13, v7 :: v_dual_add_f32 v19, v11, v5
	s_delay_alu instid0(VALU_DEP_1)
	v_add_f32_e32 v20, v12, v8
	s_branch .LBB9_3
.LBB9_20:
	s_or_b32 exec_lo, exec_lo, s19
	s_mov_b32 s2, 0
.LBB9_21:
	s_delay_alu instid0(SALU_CYCLE_1)
	s_and_not1_b32 vcc_lo, exec_lo, s2
	s_cbranch_vccnz .LBB9_65
; %bb.22:
	v_cmp_lt_i64_e64 s2, s[6:7], 1
	s_delay_alu instid0(VALU_DEP_1)
	s_and_b32 vcc_lo, exec_lo, s2
	s_cbranch_vccnz .LBB9_65
; %bb.23:
	s_load_b32 s0, s[0:1], 0xc5c
	v_dual_mov_b32 v1, 0 :: v_dual_lshlrev_b32 v6, 3, v0
	v_cmp_gt_u64_e64 s1, 0x10000, s[6:7]
	s_mov_b32 s9, 0
	s_delay_alu instid0(VALU_DEP_2) | instskip(NEXT) | instid1(VALU_DEP_3)
	v_or_b32_e32 v2, 4, v6
	v_mov_b32_e32 v3, v1
	s_delay_alu instid0(VALU_DEP_2) | instskip(NEXT) | instid1(VALU_DEP_1)
	v_add_co_u32 v28, s2, s14, v2
	v_add_co_ci_u32_e64 v29, null, s15, 0, s2
	v_add_co_u32 v30, s2, s12, v2
	s_delay_alu instid0(VALU_DEP_1)
	v_add_co_ci_u32_e64 v31, null, s13, 0, s2
	s_waitcnt lgkmcnt(0)
	s_and_b32 s18, s0, 0xffff
	s_and_b32 s0, s1, exec_lo
	v_add_lshl_u32 v7, v0, s18, 3
	v_mad_u64_u32 v[4:5], null, s18, 24, v[2:3]
	s_cselect_b32 s11, s7, 0
	s_cselect_b32 s10, s6, 0x10000
	s_delay_alu instid0(VALU_DEP_2) | instskip(NEXT) | instid1(VALU_DEP_1)
	v_add_co_u32 v32, s0, s16, v7
	v_add_co_ci_u32_e64 v33, null, s17, 0, s0
	v_add_co_u32 v34, s0, s16, v2
	s_delay_alu instid0(VALU_DEP_1) | instskip(SKIP_1) | instid1(VALU_DEP_1)
	v_add_co_ci_u32_e64 v35, null, s17, 0, s0
	v_add_co_u32 v36, s0, s12, v7
	v_add_co_ci_u32_e64 v37, null, s13, 0, s0
	v_add_co_u32 v40, s0, s14, v7
	v_add_co_u32 v38, vcc_lo, s14, v4
	v_add_co_ci_u32_e64 v41, null, s15, 0, s0
	s_lshl_b32 s0, s18, 4
	v_add_co_ci_u32_e32 v39, vcc_lo, s15, v5, vcc_lo
	v_add_co_u32 v2, s0, s0, v6
	v_add_co_u32 v42, vcc_lo, s12, v4
	v_add_co_ci_u32_e32 v43, vcc_lo, s13, v5, vcc_lo
	v_add_co_u32 v44, vcc_lo, s16, v4
	v_add_co_ci_u32_e64 v3, null, 0, 0, s0
	v_or_b32_e32 v4, 4, v2
	v_add_co_ci_u32_e32 v45, vcc_lo, s17, v5, vcc_lo
	v_add_co_u32 v46, vcc_lo, s16, v2
	s_delay_alu instid0(VALU_DEP_4) | instskip(NEXT) | instid1(VALU_DEP_4)
	v_add_co_ci_u32_e32 v47, vcc_lo, s17, v3, vcc_lo
	v_add_co_u32 v48, vcc_lo, s14, v4
	v_add_co_ci_u32_e32 v49, vcc_lo, s15, v3, vcc_lo
	v_add_co_u32 v50, vcc_lo, s12, v4
	v_add_co_ci_u32_e32 v51, vcc_lo, s13, v3, vcc_lo
	s_lshl_b32 s8, s18, 2
	s_lshl_b32 s19, s18, 1
	s_mul_i32 s20, s18, 3
	s_lshl_b32 s14, s18, 5
	s_mov_b64 s[12:13], s[8:9]
	s_branch .LBB9_25
.LBB9_24:                               ;   in Loop: Header=BB9_25 Depth=1
	s_or_b32 exec_lo, exec_lo, s0
	v_add_co_u32 v0, vcc_lo, v0, s8
	v_add_co_ci_u32_e32 v1, vcc_lo, 0, v1, vcc_lo
	v_add_co_u32 v28, vcc_lo, v28, s14
	v_add_co_ci_u32_e32 v29, vcc_lo, 0, v29, vcc_lo
	;; [unrolled: 2-line block ×11, first 2 shown]
	v_cmp_ge_i64_e64 s0, s[12:13], s[6:7]
	v_cmp_lt_u64_e64 s1, 0xffff, s[12:13]
	v_add_co_u32 v48, vcc_lo, v48, s14
	v_add_co_ci_u32_e32 v49, vcc_lo, 0, v49, vcc_lo
	v_add_co_u32 v50, vcc_lo, v50, s14
	v_add_co_ci_u32_e32 v51, vcc_lo, 0, v51, vcc_lo
	s_or_b32 s0, s0, s1
	s_add_u32 s12, s12, s8
	s_addc_u32 s13, s13, 0
	s_and_b32 vcc_lo, exec_lo, s0
	s_cbranch_vccnz .LBB9_65
.LBB9_25:                               ; =>This Inner Loop Header: Depth=1
	v_cmp_gt_u64_e32 vcc_lo, s[10:11], v[0:1]
	v_dual_mov_b32 v25, 0 :: v_dual_mov_b32 v24, 0
	v_dual_mov_b32 v15, 0 :: v_dual_mov_b32 v14, 0
	s_and_saveexec_b32 s1, vcc_lo
	s_cbranch_execz .LBB9_27
; %bb.26:                               ;   in Loop: Header=BB9_25 Depth=1
	v_add_co_u32 v2, s0, v30, s4
	s_delay_alu instid0(VALU_DEP_1) | instskip(SKIP_1) | instid1(VALU_DEP_1)
	v_add_co_ci_u32_e64 v3, s0, s5, v31, s0
	v_add_co_u32 v4, s0, v28, s4
	v_add_co_ci_u32_e64 v5, s0, s5, v29, s0
	global_load_b64 v[14:15], v[2:3], off offset:-4
	global_load_b64 v[24:25], v[4:5], off offset:-4
.LBB9_27:                               ;   in Loop: Header=BB9_25 Depth=1
	s_or_b32 exec_lo, exec_lo, s1
	v_dual_mov_b32 v9, 0 :: v_dual_mov_b32 v26, 0
	v_mov_b32_e32 v27, 0
	s_and_saveexec_b32 s1, vcc_lo
	s_cbranch_execz .LBB9_29
; %bb.28:                               ;   in Loop: Header=BB9_25 Depth=1
	v_add_co_u32 v2, s0, v34, s4
	s_delay_alu instid0(VALU_DEP_1)
	v_add_co_ci_u32_e64 v3, s0, s5, v35, s0
	global_load_b64 v[26:27], v[2:3], off offset:-4
.LBB9_29:                               ;   in Loop: Header=BB9_25 Depth=1
	s_or_b32 exec_lo, exec_lo, s1
	v_add_co_u32 v2, s0, s18, v0
	s_delay_alu instid0(VALU_DEP_1) | instskip(SKIP_2) | instid1(VALU_DEP_3)
	v_add_co_ci_u32_e64 v3, s0, 0, v1, s0
	v_dual_mov_b32 v8, 0 :: v_dual_mov_b32 v13, 0
	v_mov_b32_e32 v12, 0
	v_cmp_gt_u64_e64 s0, s[10:11], v[2:3]
	s_delay_alu instid0(VALU_DEP_1)
	s_and_saveexec_b32 s2, s0
	s_cbranch_execz .LBB9_31
; %bb.30:                               ;   in Loop: Header=BB9_25 Depth=1
	v_add_co_u32 v2, s1, v36, s4
	s_delay_alu instid0(VALU_DEP_1) | instskip(SKIP_1) | instid1(VALU_DEP_1)
	v_add_co_ci_u32_e64 v3, s1, s5, v37, s1
	v_add_co_u32 v4, s1, v40, s4
	v_add_co_ci_u32_e64 v5, s1, s5, v41, s1
	global_load_b64 v[12:13], v[2:3], off
	global_load_b64 v[8:9], v[4:5], off
.LBB9_31:                               ;   in Loop: Header=BB9_25 Depth=1
	s_or_b32 exec_lo, exec_lo, s2
	v_dual_mov_b32 v5, 0 :: v_dual_mov_b32 v22, 0
	v_mov_b32_e32 v23, 0
	s_and_saveexec_b32 s2, s0
	s_cbranch_execz .LBB9_33
; %bb.32:                               ;   in Loop: Header=BB9_25 Depth=1
	v_add_co_u32 v2, s1, v32, s4
	s_delay_alu instid0(VALU_DEP_1)
	v_add_co_ci_u32_e64 v3, s1, s5, v33, s1
	global_load_b64 v[22:23], v[2:3], off
.LBB9_33:                               ;   in Loop: Header=BB9_25 Depth=1
	s_or_b32 exec_lo, exec_lo, s2
	v_add_co_u32 v2, s1, s19, v0
	s_delay_alu instid0(VALU_DEP_1) | instskip(SKIP_2) | instid1(VALU_DEP_3)
	v_add_co_ci_u32_e64 v3, s1, 0, v1, s1
	v_dual_mov_b32 v4, 0 :: v_dual_mov_b32 v11, 0
	v_mov_b32_e32 v10, 0
	v_cmp_gt_u64_e64 s1, s[10:11], v[2:3]
	s_delay_alu instid0(VALU_DEP_1)
	s_and_saveexec_b32 s3, s1
	s_cbranch_execz .LBB9_35
; %bb.34:                               ;   in Loop: Header=BB9_25 Depth=1
	v_add_co_u32 v2, s2, v50, s4
	s_delay_alu instid0(VALU_DEP_1) | instskip(SKIP_1) | instid1(VALU_DEP_1)
	v_add_co_ci_u32_e64 v3, s2, s5, v51, s2
	v_add_co_u32 v4, s2, v48, s4
	v_add_co_ci_u32_e64 v5, s2, s5, v49, s2
	global_load_b64 v[10:11], v[2:3], off offset:-4
	global_load_b64 v[4:5], v[4:5], off offset:-4
.LBB9_35:                               ;   in Loop: Header=BB9_25 Depth=1
	s_or_b32 exec_lo, exec_lo, s3
	v_dual_mov_b32 v3, 0 :: v_dual_mov_b32 v20, 0
	v_mov_b32_e32 v21, 0
	s_and_saveexec_b32 s3, s1
	s_cbranch_execz .LBB9_37
; %bb.36:                               ;   in Loop: Header=BB9_25 Depth=1
	v_add_co_u32 v6, s2, v46, s4
	s_delay_alu instid0(VALU_DEP_1)
	v_add_co_ci_u32_e64 v7, s2, s5, v47, s2
	global_load_b64 v[20:21], v[6:7], off
.LBB9_37:                               ;   in Loop: Header=BB9_25 Depth=1
	s_or_b32 exec_lo, exec_lo, s3
	v_add_co_u32 v6, s2, s20, v0
	s_delay_alu instid0(VALU_DEP_1) | instskip(SKIP_1) | instid1(VALU_DEP_2)
	v_add_co_ci_u32_e64 v7, s2, 0, v1, s2
	v_mov_b32_e32 v2, 0
	v_cmp_gt_u64_e64 s2, s[10:11], v[6:7]
	v_dual_mov_b32 v7, 0 :: v_dual_mov_b32 v6, 0
	s_delay_alu instid0(VALU_DEP_2)
	s_and_saveexec_b32 s9, s2
	s_cbranch_execz .LBB9_39
; %bb.38:                               ;   in Loop: Header=BB9_25 Depth=1
	v_add_co_u32 v2, s3, v42, s4
	s_delay_alu instid0(VALU_DEP_1) | instskip(SKIP_1) | instid1(VALU_DEP_1)
	v_add_co_ci_u32_e64 v3, s3, s5, v43, s3
	v_add_co_u32 v16, s3, v38, s4
	v_add_co_ci_u32_e64 v17, s3, s5, v39, s3
	global_load_b64 v[6:7], v[2:3], off offset:-4
	global_load_b64 v[2:3], v[16:17], off offset:-4
.LBB9_39:                               ;   in Loop: Header=BB9_25 Depth=1
	s_or_b32 exec_lo, exec_lo, s9
	v_dual_mov_b32 v17, 0 :: v_dual_mov_b32 v16, 0
	s_and_saveexec_b32 s9, s2
	s_cbranch_execz .LBB9_41
; %bb.40:                               ;   in Loop: Header=BB9_25 Depth=1
	v_add_co_u32 v16, s3, v44, s4
	s_delay_alu instid0(VALU_DEP_1)
	v_add_co_ci_u32_e64 v17, s3, s5, v45, s3
	global_load_b64 v[16:17], v[16:17], off offset:-4
.LBB9_41:                               ;   in Loop: Header=BB9_25 Depth=1
	s_or_b32 exec_lo, exec_lo, s9
	s_waitcnt vmcnt(0)
	v_dual_mul_f32 v18, v26, v26 :: v_dual_sub_f32 v53, v25, v15
	v_sub_f32_e32 v52, v24, v14
                                        ; implicit-def: $vgpr19
	s_delay_alu instid0(VALU_DEP_2) | instskip(NEXT) | instid1(VALU_DEP_1)
	v_fmac_f32_e32 v18, v27, v27
	v_cmp_ngt_f32_e64 s3, 0x3e800000, v18
	s_delay_alu instid0(VALU_DEP_1) | instskip(NEXT) | instid1(SALU_CYCLE_1)
	s_and_saveexec_b32 s9, s3
	s_xor_b32 s3, exec_lo, s9
; %bb.42:                               ;   in Loop: Header=BB9_25 Depth=1
	v_dual_sub_f32 v14, 1.0, v26 :: v_dual_sub_f32 v15, 0, v27
	v_mul_f32_e64 v18, v53, -v27
                                        ; implicit-def: $vgpr27
	s_delay_alu instid0(VALU_DEP_2) | instskip(NEXT) | instid1(VALU_DEP_2)
	v_mul_f32_e32 v19, v53, v14
                                        ; implicit-def: $vgpr53
	v_fma_f32 v14, v52, v14, -v18
	s_delay_alu instid0(VALU_DEP_2) | instskip(NEXT) | instid1(VALU_DEP_2)
	v_fmac_f32_e32 v19, v52, v15
                                        ; implicit-def: $vgpr52
	v_sub_f32_e32 v18, v24, v14
                                        ; implicit-def: $vgpr14
	s_delay_alu instid0(VALU_DEP_2)
	v_sub_f32_e32 v19, v25, v19
; %bb.43:                               ;   in Loop: Header=BB9_25 Depth=1
	s_and_not1_saveexec_b32 s3, s3
; %bb.44:                               ;   in Loop: Header=BB9_25 Depth=1
	v_mul_f32_e32 v18, v53, v27
	v_mul_f32_e32 v19, v53, v26
	s_delay_alu instid0(VALU_DEP_2) | instskip(NEXT) | instid1(VALU_DEP_1)
	v_fma_f32 v18, v52, v26, -v18
	v_dual_fmac_f32 v19, v52, v27 :: v_dual_add_f32 v18, v14, v18
	s_delay_alu instid0(VALU_DEP_1)
	v_add_f32_e32 v19, v15, v19
; %bb.45:                               ;   in Loop: Header=BB9_25 Depth=1
	s_or_b32 exec_lo, exec_lo, s3
	v_dual_mul_f32 v14, v22, v22 :: v_dual_sub_f32 v25, v9, v13
	v_sub_f32_e32 v24, v8, v12
                                        ; implicit-def: $vgpr15
	s_delay_alu instid0(VALU_DEP_2) | instskip(NEXT) | instid1(VALU_DEP_1)
	v_fmac_f32_e32 v14, v23, v23
	v_cmp_ngt_f32_e64 s3, 0x3e800000, v14
	s_delay_alu instid0(VALU_DEP_1) | instskip(NEXT) | instid1(SALU_CYCLE_1)
	s_and_saveexec_b32 s9, s3
	s_xor_b32 s3, exec_lo, s9
; %bb.46:                               ;   in Loop: Header=BB9_25 Depth=1
	v_dual_sub_f32 v12, 1.0, v22 :: v_dual_sub_f32 v13, 0, v23
	v_mul_f32_e64 v14, v25, -v23
                                        ; implicit-def: $vgpr23
	s_delay_alu instid0(VALU_DEP_2) | instskip(NEXT) | instid1(VALU_DEP_2)
	v_mul_f32_e32 v15, v25, v12
                                        ; implicit-def: $vgpr25
	v_fma_f32 v12, v24, v12, -v14
	s_delay_alu instid0(VALU_DEP_2) | instskip(NEXT) | instid1(VALU_DEP_2)
	v_fmac_f32_e32 v15, v24, v13
                                        ; implicit-def: $vgpr24
	v_sub_f32_e32 v14, v8, v12
                                        ; implicit-def: $vgpr12
	s_delay_alu instid0(VALU_DEP_2)
	v_sub_f32_e32 v15, v9, v15
; %bb.47:                               ;   in Loop: Header=BB9_25 Depth=1
	s_and_not1_saveexec_b32 s3, s3
; %bb.48:                               ;   in Loop: Header=BB9_25 Depth=1
	v_mul_f32_e32 v8, v25, v23
	s_delay_alu instid0(VALU_DEP_1) | instskip(NEXT) | instid1(VALU_DEP_1)
	v_fma_f32 v8, v24, v22, -v8
	v_dual_mul_f32 v9, v25, v22 :: v_dual_add_f32 v14, v12, v8
	s_delay_alu instid0(VALU_DEP_1) | instskip(NEXT) | instid1(VALU_DEP_1)
	v_fmac_f32_e32 v9, v24, v23
	v_add_f32_e32 v15, v13, v9
; %bb.49:                               ;   in Loop: Header=BB9_25 Depth=1
	s_or_b32 exec_lo, exec_lo, s3
	v_dual_mul_f32 v8, v20, v20 :: v_dual_sub_f32 v13, v5, v11
	v_sub_f32_e32 v12, v4, v10
                                        ; implicit-def: $vgpr9
	s_delay_alu instid0(VALU_DEP_2) | instskip(NEXT) | instid1(VALU_DEP_1)
	v_fmac_f32_e32 v8, v21, v21
	v_cmp_ngt_f32_e64 s3, 0x3e800000, v8
	s_delay_alu instid0(VALU_DEP_1) | instskip(NEXT) | instid1(SALU_CYCLE_1)
	s_and_saveexec_b32 s9, s3
	s_xor_b32 s3, exec_lo, s9
; %bb.50:                               ;   in Loop: Header=BB9_25 Depth=1
	v_dual_sub_f32 v8, 1.0, v20 :: v_dual_sub_f32 v9, 0, v21
	v_mul_f32_e64 v10, v13, -v21
                                        ; implicit-def: $vgpr21
	s_delay_alu instid0(VALU_DEP_2) | instskip(NEXT) | instid1(VALU_DEP_2)
	v_mul_f32_e32 v11, v13, v8
                                        ; implicit-def: $vgpr13
	v_fma_f32 v8, v12, v8, -v10
                                        ; implicit-def: $vgpr10
	s_delay_alu instid0(VALU_DEP_2) | instskip(NEXT) | instid1(VALU_DEP_1)
	v_fmac_f32_e32 v11, v12, v9
                                        ; implicit-def: $vgpr12
	v_dual_sub_f32 v8, v4, v8 :: v_dual_sub_f32 v9, v5, v11
; %bb.51:                               ;   in Loop: Header=BB9_25 Depth=1
	s_and_not1_saveexec_b32 s3, s3
; %bb.52:                               ;   in Loop: Header=BB9_25 Depth=1
	v_mul_f32_e32 v4, v13, v21
	v_mul_f32_e32 v5, v13, v20
	s_delay_alu instid0(VALU_DEP_2) | instskip(NEXT) | instid1(VALU_DEP_1)
	v_fma_f32 v4, v12, v20, -v4
	v_dual_fmac_f32 v5, v12, v21 :: v_dual_add_f32 v8, v10, v4
	s_delay_alu instid0(VALU_DEP_1)
	v_add_f32_e32 v9, v11, v5
; %bb.53:                               ;   in Loop: Header=BB9_25 Depth=1
	s_or_b32 exec_lo, exec_lo, s3
	v_dual_mul_f32 v4, v16, v16 :: v_dual_sub_f32 v11, v3, v7
	v_sub_f32_e32 v10, v2, v6
                                        ; implicit-def: $vgpr5
	s_delay_alu instid0(VALU_DEP_2) | instskip(NEXT) | instid1(VALU_DEP_1)
	v_fmac_f32_e32 v4, v17, v17
	v_cmp_ngt_f32_e64 s3, 0x3e800000, v4
	s_delay_alu instid0(VALU_DEP_1) | instskip(NEXT) | instid1(SALU_CYCLE_1)
	s_and_saveexec_b32 s9, s3
	s_xor_b32 s3, exec_lo, s9
	s_cbranch_execnz .LBB9_59
; %bb.54:                               ;   in Loop: Header=BB9_25 Depth=1
	s_and_not1_saveexec_b32 s3, s3
	s_cbranch_execnz .LBB9_60
.LBB9_55:                               ;   in Loop: Header=BB9_25 Depth=1
	s_or_b32 exec_lo, exec_lo, s3
	s_and_saveexec_b32 s3, vcc_lo
	s_delay_alu instid0(SALU_CYCLE_1)
	s_xor_b32 s3, exec_lo, s3
	s_cbranch_execnz .LBB9_61
.LBB9_56:                               ;   in Loop: Header=BB9_25 Depth=1
	s_or_b32 exec_lo, exec_lo, s3
	s_and_saveexec_b32 s3, s0
	s_cbranch_execnz .LBB9_62
.LBB9_57:                               ;   in Loop: Header=BB9_25 Depth=1
	s_or_b32 exec_lo, exec_lo, s3
	s_and_saveexec_b32 s0, s1
	s_cbranch_execnz .LBB9_63
.LBB9_58:                               ;   in Loop: Header=BB9_25 Depth=1
	s_or_b32 exec_lo, exec_lo, s0
	s_and_saveexec_b32 s0, s2
	s_cbranch_execz .LBB9_24
	s_branch .LBB9_64
.LBB9_59:                               ;   in Loop: Header=BB9_25 Depth=1
	v_dual_sub_f32 v4, 1.0, v16 :: v_dual_sub_f32 v5, 0, v17
	v_mul_f32_e64 v6, v11, -v17
                                        ; implicit-def: $vgpr17
	s_delay_alu instid0(VALU_DEP_2) | instskip(NEXT) | instid1(VALU_DEP_2)
	v_mul_f32_e32 v7, v11, v4
                                        ; implicit-def: $vgpr11
	v_fma_f32 v4, v10, v4, -v6
                                        ; implicit-def: $vgpr6
	s_delay_alu instid0(VALU_DEP_2) | instskip(NEXT) | instid1(VALU_DEP_1)
	v_fmac_f32_e32 v7, v10, v5
                                        ; implicit-def: $vgpr10
	v_dual_sub_f32 v4, v2, v4 :: v_dual_sub_f32 v5, v3, v7
	s_and_not1_saveexec_b32 s3, s3
	s_cbranch_execz .LBB9_55
.LBB9_60:                               ;   in Loop: Header=BB9_25 Depth=1
	v_mul_f32_e32 v2, v11, v17
	s_delay_alu instid0(VALU_DEP_1) | instskip(NEXT) | instid1(VALU_DEP_1)
	v_fma_f32 v2, v10, v16, -v2
	v_dual_mul_f32 v3, v11, v16 :: v_dual_add_f32 v4, v6, v2
	s_delay_alu instid0(VALU_DEP_1) | instskip(NEXT) | instid1(VALU_DEP_1)
	v_fmac_f32_e32 v3, v10, v17
	v_add_f32_e32 v5, v7, v3
	s_or_b32 exec_lo, exec_lo, s3
	s_and_saveexec_b32 s3, vcc_lo
	s_delay_alu instid0(SALU_CYCLE_1)
	s_xor_b32 s3, exec_lo, s3
	s_cbranch_execz .LBB9_56
.LBB9_61:                               ;   in Loop: Header=BB9_25 Depth=1
	v_add_co_u32 v2, vcc_lo, v30, s4
	v_add_co_ci_u32_e32 v3, vcc_lo, s5, v31, vcc_lo
	global_store_b64 v[2:3], v[18:19], off offset:-4
	s_or_b32 exec_lo, exec_lo, s3
	s_and_saveexec_b32 s3, s0
	s_cbranch_execz .LBB9_57
.LBB9_62:                               ;   in Loop: Header=BB9_25 Depth=1
	v_add_co_u32 v2, vcc_lo, v36, s4
	v_add_co_ci_u32_e32 v3, vcc_lo, s5, v37, vcc_lo
	global_store_b64 v[2:3], v[14:15], off
	s_or_b32 exec_lo, exec_lo, s3
	s_and_saveexec_b32 s0, s1
	s_cbranch_execz .LBB9_58
.LBB9_63:                               ;   in Loop: Header=BB9_25 Depth=1
	v_add_co_u32 v2, vcc_lo, v50, s4
	v_add_co_ci_u32_e32 v3, vcc_lo, s5, v51, vcc_lo
	global_store_b64 v[2:3], v[8:9], off offset:-4
	s_or_b32 exec_lo, exec_lo, s0
	s_and_saveexec_b32 s0, s2
	s_cbranch_execz .LBB9_24
.LBB9_64:                               ;   in Loop: Header=BB9_25 Depth=1
	v_add_co_u32 v2, vcc_lo, v42, s4
	v_add_co_ci_u32_e32 v3, vcc_lo, s5, v43, vcc_lo
	global_store_b64 v[2:3], v[4:5], off offset:-4
	s_branch .LBB9_24
.LBB9_65:
	s_nop 0
	s_sendmsg sendmsg(MSG_DEALLOC_VGPRS)
	s_endpgm
	.section	.rodata,"a",@progbits
	.p2align	6, 0x0
	.amdhsa_kernel _ZN2at6native12_GLOBAL__N_125multi_tensor_apply_kernelINS1_18TensorListMetadataILi3EEENS1_20TernaryOpListFunctorIN3c107complexIfEELi3ELi3ELi0EEEJNS0_11LerpFunctorIS8_EEEEEvT_T0_DpT1_
		.amdhsa_group_segment_fixed_size 0
		.amdhsa_private_segment_fixed_size 0
		.amdhsa_kernarg_size 3408
		.amdhsa_user_sgpr_count 15
		.amdhsa_user_sgpr_dispatch_ptr 0
		.amdhsa_user_sgpr_queue_ptr 0
		.amdhsa_user_sgpr_kernarg_segment_ptr 1
		.amdhsa_user_sgpr_dispatch_id 0
		.amdhsa_user_sgpr_private_segment_size 0
		.amdhsa_wavefront_size32 1
		.amdhsa_uses_dynamic_stack 0
		.amdhsa_enable_private_segment 0
		.amdhsa_system_sgpr_workgroup_id_x 1
		.amdhsa_system_sgpr_workgroup_id_y 0
		.amdhsa_system_sgpr_workgroup_id_z 0
		.amdhsa_system_sgpr_workgroup_info 0
		.amdhsa_system_vgpr_workitem_id 0
		.amdhsa_next_free_vgpr 54
		.amdhsa_next_free_sgpr 26
		.amdhsa_reserve_vcc 1
		.amdhsa_float_round_mode_32 0
		.amdhsa_float_round_mode_16_64 0
		.amdhsa_float_denorm_mode_32 3
		.amdhsa_float_denorm_mode_16_64 3
		.amdhsa_dx10_clamp 1
		.amdhsa_ieee_mode 1
		.amdhsa_fp16_overflow 0
		.amdhsa_workgroup_processor_mode 1
		.amdhsa_memory_ordered 1
		.amdhsa_forward_progress 0
		.amdhsa_shared_vgpr_count 0
		.amdhsa_exception_fp_ieee_invalid_op 0
		.amdhsa_exception_fp_denorm_src 0
		.amdhsa_exception_fp_ieee_div_zero 0
		.amdhsa_exception_fp_ieee_overflow 0
		.amdhsa_exception_fp_ieee_underflow 0
		.amdhsa_exception_fp_ieee_inexact 0
		.amdhsa_exception_int_div_zero 0
	.end_amdhsa_kernel
	.section	.text._ZN2at6native12_GLOBAL__N_125multi_tensor_apply_kernelINS1_18TensorListMetadataILi3EEENS1_20TernaryOpListFunctorIN3c107complexIfEELi3ELi3ELi0EEEJNS0_11LerpFunctorIS8_EEEEEvT_T0_DpT1_,"axG",@progbits,_ZN2at6native12_GLOBAL__N_125multi_tensor_apply_kernelINS1_18TensorListMetadataILi3EEENS1_20TernaryOpListFunctorIN3c107complexIfEELi3ELi3ELi0EEEJNS0_11LerpFunctorIS8_EEEEEvT_T0_DpT1_,comdat
.Lfunc_end9:
	.size	_ZN2at6native12_GLOBAL__N_125multi_tensor_apply_kernelINS1_18TensorListMetadataILi3EEENS1_20TernaryOpListFunctorIN3c107complexIfEELi3ELi3ELi0EEEJNS0_11LerpFunctorIS8_EEEEEvT_T0_DpT1_, .Lfunc_end9-_ZN2at6native12_GLOBAL__N_125multi_tensor_apply_kernelINS1_18TensorListMetadataILi3EEENS1_20TernaryOpListFunctorIN3c107complexIfEELi3ELi3ELi0EEEJNS0_11LerpFunctorIS8_EEEEEvT_T0_DpT1_
                                        ; -- End function
	.section	.AMDGPU.csdata,"",@progbits
; Kernel info:
; codeLenInByte = 2984
; NumSgprs: 28
; NumVgprs: 54
; ScratchSize: 0
; MemoryBound: 1
; FloatMode: 240
; IeeeMode: 1
; LDSByteSize: 0 bytes/workgroup (compile time only)
; SGPRBlocks: 3
; VGPRBlocks: 6
; NumSGPRsForWavesPerEU: 28
; NumVGPRsForWavesPerEU: 54
; Occupancy: 16
; WaveLimiterHint : 0
; COMPUTE_PGM_RSRC2:SCRATCH_EN: 0
; COMPUTE_PGM_RSRC2:USER_SGPR: 15
; COMPUTE_PGM_RSRC2:TRAP_HANDLER: 0
; COMPUTE_PGM_RSRC2:TGID_X_EN: 1
; COMPUTE_PGM_RSRC2:TGID_Y_EN: 0
; COMPUTE_PGM_RSRC2:TGID_Z_EN: 0
; COMPUTE_PGM_RSRC2:TIDIG_COMP_CNT: 0
	.section	.text._ZN2at6native12_GLOBAL__N_125multi_tensor_apply_kernelINS1_18TensorListMetadataILi3EEENS1_20TernaryOpListFunctorIN3c104HalfELi3ELi3ELi0EEEJNS0_11LerpFunctorIfEEEEEvT_T0_DpT1_,"axG",@progbits,_ZN2at6native12_GLOBAL__N_125multi_tensor_apply_kernelINS1_18TensorListMetadataILi3EEENS1_20TernaryOpListFunctorIN3c104HalfELi3ELi3ELi0EEEJNS0_11LerpFunctorIfEEEEEvT_T0_DpT1_,comdat
	.globl	_ZN2at6native12_GLOBAL__N_125multi_tensor_apply_kernelINS1_18TensorListMetadataILi3EEENS1_20TernaryOpListFunctorIN3c104HalfELi3ELi3ELi0EEEJNS0_11LerpFunctorIfEEEEEvT_T0_DpT1_ ; -- Begin function _ZN2at6native12_GLOBAL__N_125multi_tensor_apply_kernelINS1_18TensorListMetadataILi3EEENS1_20TernaryOpListFunctorIN3c104HalfELi3ELi3ELi0EEEJNS0_11LerpFunctorIfEEEEEvT_T0_DpT1_
	.p2align	8
	.type	_ZN2at6native12_GLOBAL__N_125multi_tensor_apply_kernelINS1_18TensorListMetadataILi3EEENS1_20TernaryOpListFunctorIN3c104HalfELi3ELi3ELi0EEEJNS0_11LerpFunctorIfEEEEEvT_T0_DpT1_,@function
_ZN2at6native12_GLOBAL__N_125multi_tensor_apply_kernelINS1_18TensorListMetadataILi3EEENS1_20TernaryOpListFunctorIN3c104HalfELi3ELi3ELi0EEEJNS0_11LerpFunctorIfEEEEEvT_T0_DpT1_: ; @_ZN2at6native12_GLOBAL__N_125multi_tensor_apply_kernelINS1_18TensorListMetadataILi3EEENS1_20TernaryOpListFunctorIN3c104HalfELi3ELi3ELi0EEEJNS0_11LerpFunctorIfEEEEEvT_T0_DpT1_
; %bb.0:
	v_mov_b32_e32 v1, s15
	s_add_u32 s2, s0, s15
	s_mul_hi_u32 s3, s15, 3
	s_mul_i32 s15, s15, 3
	s_addc_u32 s4, s1, 0
	global_load_u8 v1, v1, s[0:1] offset:1536
	s_add_u32 s2, s2, s15
	s_addc_u32 s3, s4, s3
	s_mov_b32 s23, 0
	s_load_b32 s2, s[2:3], 0x740
	s_mov_b32 s25, s23
	s_waitcnt vmcnt(0)
	v_readfirstlane_b32 s3, v1
	s_delay_alu instid0(VALU_DEP_1)
	s_lshl_b32 s3, s3, 3
	s_clause 0x3
	s_load_b64 s[10:11], s[0:1], s3 offset:0x0
	s_load_b64 s[12:13], s[0:1], s3 offset:0x180
	;; [unrolled: 1-line block ×4, first 2 shown]
	s_waitcnt lgkmcnt(0)
	s_ashr_i32 s3, s2, 31
	s_delay_alu instid0(SALU_CYCLE_1) | instskip(NEXT) | instid1(SALU_CYCLE_1)
	s_lshl_b64 s[4:5], s[2:3], 17
	s_add_u32 s8, s10, s4
	s_addc_u32 s9, s11, s5
	s_and_b32 s22, s8, 7
	s_add_u32 s16, s12, s4
	s_addc_u32 s17, s13, s5
	s_add_u32 s18, s14, s4
	s_addc_u32 s19, s15, s5
	s_or_b32 s6, s18, s16
	s_delay_alu instid0(SALU_CYCLE_1) | instskip(NEXT) | instid1(SALU_CYCLE_1)
	s_and_b32 s6, s6, 7
	s_cmp_lg_u32 s6, 0
	s_cselect_b32 s26, -1, 0
	s_lshl_b64 s[2:3], s[2:3], 16
	s_delay_alu instid0(SALU_CYCLE_1) | instskip(SKIP_2) | instid1(SALU_CYCLE_1)
	s_sub_u32 s6, s20, s2
	s_subb_u32 s7, s21, s3
	s_and_b32 s24, s20, 3
	s_or_b64 s[2:3], s[22:23], s[24:25]
	s_delay_alu instid0(SALU_CYCLE_1) | instskip(SKIP_1) | instid1(SALU_CYCLE_1)
	s_cmp_lg_u64 s[2:3], 0
	s_cselect_b32 s2, -1, 0
	s_or_b32 s2, s26, s2
	s_delay_alu instid0(SALU_CYCLE_1)
	s_and_not1_b32 vcc_lo, exec_lo, s2
	s_mov_b32 s2, -1
	s_cbranch_vccz .LBB10_5
; %bb.1:
	v_dual_mov_b32 v2, 0 :: v_dual_lshlrev_b32 v1, 2, v0
	s_mov_b32 s20, exec_lo
	s_delay_alu instid0(VALU_DEP_1)
	v_cmpx_gt_i64_e64 s[6:7], v[1:2]
	s_cbranch_execz .LBB10_4
; %bb.2:
	s_load_b32 s2, s[0:1], 0xc5c
	v_lshlrev_b32_e32 v3, 3, v0
	s_mov_b32 s21, 0
	s_waitcnt lgkmcnt(0)
	s_and_b32 s2, s2, 0xffff
	s_delay_alu instid0(SALU_CYCLE_1)
	v_add_lshl_u32 v1, v0, s2, 2
	s_lshl_b32 s22, s2, 2
	s_lshl_b32 s23, s2, 3
.LBB10_3:                               ; =>This Inner Loop Header: Depth=1
	v_add_co_u32 v4, s2, s8, v3
	s_delay_alu instid0(VALU_DEP_1) | instskip(SKIP_1) | instid1(VALU_DEP_1)
	v_add_co_ci_u32_e64 v5, null, s9, 0, s2
	v_add_co_u32 v6, s2, s16, v3
	v_add_co_ci_u32_e64 v7, null, s17, 0, s2
	v_add_co_u32 v8, s2, s18, v3
	s_delay_alu instid0(VALU_DEP_1)
	v_add_co_ci_u32_e64 v9, null, s19, 0, s2
	global_load_b64 v[10:11], v[4:5], off
	global_load_b64 v[6:7], v[6:7], off
	;; [unrolled: 1-line block ×3, first 2 shown]
	v_cmp_le_i64_e32 vcc_lo, s[6:7], v[1:2]
	v_cmp_lt_u64_e64 s2, 0xffff, v[1:2]
	v_add_co_u32 v1, s3, v1, s22
	s_delay_alu instid0(VALU_DEP_1) | instskip(NEXT) | instid1(VALU_DEP_3)
	v_add_co_ci_u32_e64 v2, s3, 0, v2, s3
	s_or_b32 s3, vcc_lo, s2
	s_add_u32 s8, s8, s23
	s_addc_u32 s9, s9, 0
	s_add_u32 s18, s18, s23
	s_addc_u32 s19, s19, 0
	;; [unrolled: 2-line block ×3, first 2 shown]
	s_waitcnt vmcnt(2)
	v_lshrrev_b32_e32 v12, 16, v10
	v_lshrrev_b32_e32 v13, 16, v11
	s_waitcnt vmcnt(1)
	v_lshrrev_b32_e32 v14, 16, v6
	v_lshrrev_b32_e32 v15, 16, v7
	;; [unrolled: 3-line block ×3, first 2 shown]
	v_cvt_f32_f16_e32 v18, v10
	v_cvt_f32_f16_e32 v19, v6
	;; [unrolled: 1-line block ×6, first 2 shown]
	s_delay_alu instid0(VALU_DEP_4)
	v_dual_sub_f32 v18, v19, v18 :: v_dual_sub_f32 v19, 1.0, v20
	v_cvt_f32_f16_e32 v12, v12
	v_cvt_f32_f16_e32 v14, v14
	;; [unrolled: 1-line block ×3, first 2 shown]
	v_dual_sub_f32 v21, v22, v21 :: v_dual_sub_f32 v22, 1.0, v23
	v_cvt_f32_f16_e32 v13, v13
	v_cvt_f32_f16_e32 v15, v15
	;; [unrolled: 1-line block ×3, first 2 shown]
	v_fma_mix_f32 v24, v18, v8, v10 op_sel_hi:[0,1,1]
	v_fma_mix_f32 v18, -v18, v19, v6 op_sel_hi:[0,0,1]
	s_delay_alu instid0(VALU_DEP_4) | instskip(NEXT) | instid1(VALU_DEP_4)
	v_dual_sub_f32 v12, v14, v12 :: v_dual_sub_f32 v13, v15, v13
	v_dual_sub_f32 v14, 1.0, v16 :: v_dual_sub_f32 v15, 1.0, v17
	v_fma_mix_f32 v19, v21, v9, v11 op_sel_hi:[0,1,1]
	v_fma_mix_f32 v21, -v21, v22, v7 op_sel_hi:[0,0,1]
	v_cmp_lt_f32_e64 vcc_lo, |v23|, 0.5
	v_cmp_lt_f32_e64 s2, |v20|, 0.5
	v_fma_mix_f32 v8, v12, v8, v10 op_sel:[0,1,1] op_sel_hi:[0,1,1]
	v_fma_mix_f32 v9, v13, v9, v11 op_sel:[0,1,1] op_sel_hi:[0,1,1]
	v_fma_mix_f32 v7, -v13, v15, v7 op_sel:[0,0,1] op_sel_hi:[0,0,1]
	v_fma_mix_f32 v6, -v12, v14, v6 op_sel:[0,0,1] op_sel_hi:[0,0,1]
	v_cndmask_b32_e64 v18, v18, v24, s2
	v_cmp_lt_f32_e64 s2, |v16|, 0.5
	v_cndmask_b32_e32 v10, v21, v19, vcc_lo
	v_cmp_lt_f32_e64 vcc_lo, |v17|, 0.5
	s_delay_alu instid0(VALU_DEP_3)
	v_cndmask_b32_e64 v6, v6, v8, s2
	v_cvt_f16_f32_e32 v8, v18
	v_cndmask_b32_e32 v7, v7, v9, vcc_lo
	v_cvt_f16_f32_e32 v9, v10
	s_and_b32 s2, exec_lo, s3
	v_cvt_f16_f32_e32 v6, v6
	s_or_b32 s21, s2, s21
	v_cvt_f16_f32_e32 v7, v7
	s_delay_alu instid0(VALU_DEP_2) | instskip(NEXT) | instid1(VALU_DEP_2)
	v_pack_b32_f16 v6, v8, v6
	v_pack_b32_f16 v7, v9, v7
	global_store_b64 v[4:5], v[6:7], off
	s_and_not1_b32 exec_lo, exec_lo, s21
	s_cbranch_execnz .LBB10_3
.LBB10_4:
	s_or_b32 exec_lo, exec_lo, s20
	s_mov_b32 s2, 0
.LBB10_5:
	s_delay_alu instid0(SALU_CYCLE_1)
	s_and_not1_b32 vcc_lo, exec_lo, s2
	s_cbranch_vccnz .LBB10_33
; %bb.6:
	v_cmp_lt_i64_e64 s2, s[6:7], 1
	s_delay_alu instid0(VALU_DEP_1)
	s_and_b32 vcc_lo, exec_lo, s2
	s_cbranch_vccnz .LBB10_33
; %bb.7:
	s_load_b32 s0, s[0:1], 0xc5c
	v_dual_mov_b32 v14, 0 :: v_dual_lshlrev_b32 v13, 1, v0
	v_cmp_gt_u64_e64 s1, 0x10000, s[6:7]
	s_delay_alu instid0(VALU_DEP_2) | instskip(NEXT) | instid1(VALU_DEP_1)
	v_add_co_u32 v1, s2, s10, v13
	v_add_co_ci_u32_e64 v2, null, s11, 0, s2
	v_add_co_u32 v3, s2, s12, v13
	s_delay_alu instid0(VALU_DEP_1) | instskip(SKIP_1) | instid1(VALU_DEP_1)
	v_add_co_ci_u32_e64 v4, null, s13, 0, s2
	v_add_co_u32 v5, s2, s14, v13
	v_add_co_ci_u32_e64 v6, null, s15, 0, s2
	s_waitcnt lgkmcnt(0)
	s_and_b32 s0, s0, 0xffff
	s_and_b32 s1, s1, exec_lo
	v_mad_u64_u32 v[11:12], null, s0, 6, v[13:14]
	s_cselect_b32 s9, s7, 0
	s_cselect_b32 s8, s6, 0x10000
	s_mul_i32 s2, s0, 3
	s_lshl_b32 s16, s0, 2
	s_lshl_b32 s1, s0, 1
	v_add_co_u32 v20, s3, s16, v13
	v_add_co_u32 v13, s2, s2, v0
	v_add_co_u32 v7, vcc_lo, s10, v11
	v_add_co_ci_u32_e64 v14, null, 0, 0, s2
	v_add_co_u32 v19, s2, v0, s0
	v_add_co_ci_u32_e32 v8, vcc_lo, s11, v12, vcc_lo
	v_add_co_u32 v9, vcc_lo, s12, v11
	v_add_co_ci_u32_e32 v10, vcc_lo, s13, v12, vcc_lo
	v_add_co_u32 v11, vcc_lo, s14, v11
	v_add_co_ci_u32_e64 v21, null, 0, 0, s3
	v_lshlrev_b32_e32 v29, 1, v19
	v_add_co_ci_u32_e32 v12, vcc_lo, s15, v12, vcc_lo
	v_add_co_u32 v15, vcc_lo, s10, v20
	v_add_co_u32 v23, s1, s1, v0
	v_add_co_ci_u32_e32 v16, vcc_lo, s11, v21, vcc_lo
	v_add_co_ci_u32_e64 v24, null, 0, 0, s1
	v_add_co_u32 v25, s1, s10, v29
	v_add_co_u32 v17, vcc_lo, s12, v20
	v_add_co_ci_u32_e64 v26, null, s11, 0, s1
	v_add_co_u32 v27, s1, s12, v29
	v_add_co_ci_u32_e32 v18, vcc_lo, s13, v21, vcc_lo
	v_add_co_u32 v20, vcc_lo, s14, v20
	v_add_co_ci_u32_e64 v28, null, s13, 0, s1
	v_add_co_u32 v29, s1, s14, v29
	v_add_co_ci_u32_e32 v21, vcc_lo, s15, v21, vcc_lo
	v_add_co_ci_u32_e64 v22, null, 0, 0, s2
	v_add_co_ci_u32_e64 v30, null, s15, 0, s1
	s_lshl_b32 s12, s0, 3
	s_mov_b64 s[10:11], 0
	s_branch .LBB10_9
.LBB10_8:                               ;   in Loop: Header=BB10_9 Depth=1
	s_or_b32 exec_lo, exec_lo, s0
	v_add_co_u32 v1, vcc_lo, v1, s12
	v_add_co_ci_u32_e32 v2, vcc_lo, 0, v2, vcc_lo
	v_add_co_u32 v3, vcc_lo, v3, s12
	v_add_co_ci_u32_e32 v4, vcc_lo, 0, v4, vcc_lo
	;; [unrolled: 2-line block ×9, first 2 shown]
	s_add_u32 s10, s10, s16
	v_add_co_u32 v25, vcc_lo, v25, s12
	s_addc_u32 s11, s11, 0
	v_add_co_ci_u32_e32 v26, vcc_lo, 0, v26, vcc_lo
	v_cmp_ge_i64_e64 s0, s[10:11], s[6:7]
	v_cmp_lt_u64_e64 s1, 0xffff, s[10:11]
	v_add_co_u32 v27, vcc_lo, v27, s12
	v_add_co_ci_u32_e32 v28, vcc_lo, 0, v28, vcc_lo
	v_add_co_u32 v29, vcc_lo, v29, s12
	v_add_co_ci_u32_e32 v30, vcc_lo, 0, v30, vcc_lo
	s_or_b32 s0, s0, s1
	s_delay_alu instid0(SALU_CYCLE_1)
	s_and_b32 vcc_lo, exec_lo, s0
	s_cbranch_vccnz .LBB10_33
.LBB10_9:                               ; =>This Inner Loop Header: Depth=1
	s_waitcnt vmcnt(1)
	v_add_co_u32 v31, s0, v0, s10
	s_waitcnt vmcnt(0)
	v_add_co_ci_u32_e64 v32, null, 0, s11, s0
	s_delay_alu instid0(VALU_DEP_1)
	v_cmp_gt_u64_e32 vcc_lo, s[8:9], v[31:32]
	v_dual_mov_b32 v31, 0 :: v_dual_mov_b32 v32, 0
	s_and_saveexec_b32 s1, vcc_lo
	s_cbranch_execz .LBB10_11
; %bb.10:                               ;   in Loop: Header=BB10_9 Depth=1
	v_add_co_u32 v31, s0, v1, s4
	s_delay_alu instid0(VALU_DEP_1) | instskip(SKIP_1) | instid1(VALU_DEP_1)
	v_add_co_ci_u32_e64 v32, s0, s5, v2, s0
	v_add_co_u32 v33, s0, v3, s4
	v_add_co_ci_u32_e64 v34, s0, s5, v4, s0
	global_load_u16 v31, v[31:32], off
	global_load_u16 v32, v[33:34], off
.LBB10_11:                              ;   in Loop: Header=BB10_9 Depth=1
	s_or_b32 exec_lo, exec_lo, s1
	v_dual_mov_b32 v33, 0 :: v_dual_mov_b32 v34, 0
	s_and_saveexec_b32 s1, vcc_lo
	s_cbranch_execz .LBB10_13
; %bb.12:                               ;   in Loop: Header=BB10_9 Depth=1
	v_add_co_u32 v34, s0, v5, s4
	s_delay_alu instid0(VALU_DEP_1)
	v_add_co_ci_u32_e64 v35, s0, s5, v6, s0
	global_load_u16 v34, v[34:35], off
.LBB10_13:                              ;   in Loop: Header=BB10_9 Depth=1
	s_or_b32 exec_lo, exec_lo, s1
	v_add_co_u32 v35, s0, v19, s10
	s_delay_alu instid0(VALU_DEP_1) | instskip(NEXT) | instid1(VALU_DEP_1)
	v_add_co_ci_u32_e64 v36, s0, s11, v22, s0
	v_cmp_gt_u64_e64 s0, s[8:9], v[35:36]
	v_mov_b32_e32 v35, 0
	s_delay_alu instid0(VALU_DEP_2)
	s_and_saveexec_b32 s2, s0
	s_cbranch_execz .LBB10_15
; %bb.14:                               ;   in Loop: Header=BB10_9 Depth=1
	v_add_co_u32 v35, s1, v25, s4
	s_delay_alu instid0(VALU_DEP_1) | instskip(SKIP_1) | instid1(VALU_DEP_1)
	v_add_co_ci_u32_e64 v36, s1, s5, v26, s1
	v_add_co_u32 v37, s1, v27, s4
	v_add_co_ci_u32_e64 v38, s1, s5, v28, s1
	global_load_u16 v33, v[35:36], off
	global_load_u16 v35, v[37:38], off
.LBB10_15:                              ;   in Loop: Header=BB10_9 Depth=1
	s_or_b32 exec_lo, exec_lo, s2
	v_dual_mov_b32 v36, 0 :: v_dual_mov_b32 v37, 0
	s_and_saveexec_b32 s2, s0
	s_cbranch_execz .LBB10_17
; %bb.16:                               ;   in Loop: Header=BB10_9 Depth=1
	v_add_co_u32 v37, s1, v29, s4
	s_delay_alu instid0(VALU_DEP_1)
	v_add_co_ci_u32_e64 v38, s1, s5, v30, s1
	global_load_u16 v37, v[37:38], off
.LBB10_17:                              ;   in Loop: Header=BB10_9 Depth=1
	s_or_b32 exec_lo, exec_lo, s2
	v_add_co_u32 v38, s1, v23, s10
	s_delay_alu instid0(VALU_DEP_1) | instskip(NEXT) | instid1(VALU_DEP_1)
	v_add_co_ci_u32_e64 v39, s1, s11, v24, s1
	v_cmp_gt_u64_e64 s1, s[8:9], v[38:39]
	v_mov_b32_e32 v38, 0
	s_delay_alu instid0(VALU_DEP_2)
	s_and_saveexec_b32 s3, s1
	s_cbranch_execz .LBB10_19
; %bb.18:                               ;   in Loop: Header=BB10_9 Depth=1
	v_add_co_u32 v38, s2, v15, s4
	s_delay_alu instid0(VALU_DEP_1) | instskip(SKIP_1) | instid1(VALU_DEP_1)
	v_add_co_ci_u32_e64 v39, s2, s5, v16, s2
	v_add_co_u32 v40, s2, v17, s4
	v_add_co_ci_u32_e64 v41, s2, s5, v18, s2
	global_load_u16 v36, v[38:39], off
	global_load_u16 v38, v[40:41], off
.LBB10_19:                              ;   in Loop: Header=BB10_9 Depth=1
	s_or_b32 exec_lo, exec_lo, s3
	v_dual_mov_b32 v39, 0 :: v_dual_mov_b32 v40, 0
	s_and_saveexec_b32 s3, s1
	s_cbranch_execz .LBB10_21
; %bb.20:                               ;   in Loop: Header=BB10_9 Depth=1
	v_add_co_u32 v40, s2, v20, s4
	s_delay_alu instid0(VALU_DEP_1)
	v_add_co_ci_u32_e64 v41, s2, s5, v21, s2
	global_load_u16 v40, v[40:41], off
.LBB10_21:                              ;   in Loop: Header=BB10_9 Depth=1
	s_or_b32 exec_lo, exec_lo, s3
	v_add_co_u32 v41, s2, v13, s10
	s_delay_alu instid0(VALU_DEP_1) | instskip(NEXT) | instid1(VALU_DEP_1)
	v_add_co_ci_u32_e64 v42, s2, s11, v14, s2
	v_cmp_gt_u64_e64 s2, s[8:9], v[41:42]
	v_mov_b32_e32 v41, 0
	s_delay_alu instid0(VALU_DEP_2)
	s_and_saveexec_b32 s13, s2
	s_cbranch_execnz .LBB10_27
; %bb.22:                               ;   in Loop: Header=BB10_9 Depth=1
	s_or_b32 exec_lo, exec_lo, s13
	v_mov_b32_e32 v42, 0
	s_and_saveexec_b32 s13, s2
	s_cbranch_execnz .LBB10_28
.LBB10_23:                              ;   in Loop: Header=BB10_9 Depth=1
	s_or_b32 exec_lo, exec_lo, s13
	s_and_saveexec_b32 s3, vcc_lo
	s_cbranch_execnz .LBB10_29
.LBB10_24:                              ;   in Loop: Header=BB10_9 Depth=1
	s_or_b32 exec_lo, exec_lo, s3
	s_and_saveexec_b32 s3, s0
	s_cbranch_execnz .LBB10_30
.LBB10_25:                              ;   in Loop: Header=BB10_9 Depth=1
	s_or_b32 exec_lo, exec_lo, s3
	s_and_saveexec_b32 s0, s1
	s_cbranch_execnz .LBB10_31
.LBB10_26:                              ;   in Loop: Header=BB10_9 Depth=1
	s_or_b32 exec_lo, exec_lo, s0
	s_and_saveexec_b32 s0, s2
	s_cbranch_execz .LBB10_8
	s_branch .LBB10_32
.LBB10_27:                              ;   in Loop: Header=BB10_9 Depth=1
	v_add_co_u32 v41, s3, v7, s4
	s_delay_alu instid0(VALU_DEP_1) | instskip(SKIP_1) | instid1(VALU_DEP_1)
	v_add_co_ci_u32_e64 v42, s3, s5, v8, s3
	v_add_co_u32 v43, s3, v9, s4
	v_add_co_ci_u32_e64 v44, s3, s5, v10, s3
	global_load_u16 v39, v[41:42], off
	global_load_u16 v41, v[43:44], off
	s_or_b32 exec_lo, exec_lo, s13
	v_mov_b32_e32 v42, 0
	s_and_saveexec_b32 s13, s2
	s_cbranch_execz .LBB10_23
.LBB10_28:                              ;   in Loop: Header=BB10_9 Depth=1
	v_add_co_u32 v42, s3, v11, s4
	s_delay_alu instid0(VALU_DEP_1)
	v_add_co_ci_u32_e64 v43, s3, s5, v12, s3
	global_load_u16 v42, v[42:43], off
	s_or_b32 exec_lo, exec_lo, s13
	s_and_saveexec_b32 s3, vcc_lo
	s_cbranch_execz .LBB10_24
.LBB10_29:                              ;   in Loop: Header=BB10_9 Depth=1
	s_waitcnt vmcnt(0)
	v_cvt_f32_f16_e32 v43, v32
	v_cvt_f32_f16_e32 v44, v31
	;; [unrolled: 1-line block ×3, first 2 shown]
	s_delay_alu instid0(VALU_DEP_1) | instskip(SKIP_1) | instid1(VALU_DEP_2)
	v_dual_sub_f32 v43, v43, v44 :: v_dual_sub_f32 v44, 1.0, v45
	v_cmp_lt_f32_e64 vcc_lo, |v45|, 0.5
	v_fma_mix_f32 v31, v43, v34, v31 op_sel_hi:[0,1,1]
	s_delay_alu instid0(VALU_DEP_3) | instskip(NEXT) | instid1(VALU_DEP_1)
	v_fma_mix_f32 v32, -v43, v44, v32 op_sel_hi:[0,0,1]
	v_cndmask_b32_e32 v31, v32, v31, vcc_lo
	s_delay_alu instid0(VALU_DEP_1)
	v_cvt_f16_f32_e32 v34, v31
	v_add_co_u32 v31, vcc_lo, v1, s4
	v_add_co_ci_u32_e32 v32, vcc_lo, s5, v2, vcc_lo
	global_store_b16 v[31:32], v34, off
	s_or_b32 exec_lo, exec_lo, s3
	s_and_saveexec_b32 s3, s0
	s_cbranch_execz .LBB10_25
.LBB10_30:                              ;   in Loop: Header=BB10_9 Depth=1
	s_waitcnt vmcnt(1)
	v_cvt_f32_f16_e32 v31, v33
	s_waitcnt vmcnt(0)
	v_cvt_f32_f16_e32 v32, v35
	v_cvt_f32_f16_e32 v34, v37
	s_delay_alu instid0(VALU_DEP_1) | instskip(SKIP_1) | instid1(VALU_DEP_2)
	v_dual_sub_f32 v31, v32, v31 :: v_dual_sub_f32 v32, 1.0, v34
	v_cmp_lt_f32_e64 vcc_lo, |v34|, 0.5
	v_fma_mix_f32 v33, v31, v37, v33 op_sel_hi:[0,1,1]
	s_delay_alu instid0(VALU_DEP_3) | instskip(NEXT) | instid1(VALU_DEP_1)
	v_fma_mix_f32 v31, -v31, v32, v35 op_sel_hi:[0,0,1]
	v_cndmask_b32_e32 v31, v31, v33, vcc_lo
	s_delay_alu instid0(VALU_DEP_1)
	v_cvt_f16_f32_e32 v33, v31
	v_add_co_u32 v31, vcc_lo, v25, s4
	v_add_co_ci_u32_e32 v32, vcc_lo, s5, v26, vcc_lo
	global_store_b16 v[31:32], v33, off
	s_or_b32 exec_lo, exec_lo, s3
	s_and_saveexec_b32 s0, s1
	s_cbranch_execz .LBB10_26
.LBB10_31:                              ;   in Loop: Header=BB10_9 Depth=1
	s_waitcnt vmcnt(1)
	v_cvt_f32_f16_e32 v31, v36
	s_waitcnt vmcnt(0)
	v_cvt_f32_f16_e32 v32, v38
	v_cvt_f32_f16_e32 v33, v40
	s_delay_alu instid0(VALU_DEP_1) | instskip(SKIP_1) | instid1(VALU_DEP_2)
	v_dual_sub_f32 v31, v32, v31 :: v_dual_sub_f32 v32, 1.0, v33
	v_cmp_lt_f32_e64 vcc_lo, |v33|, 0.5
	v_fma_mix_f32 v34, v31, v40, v36 op_sel_hi:[0,1,1]
	s_delay_alu instid0(VALU_DEP_3) | instskip(NEXT) | instid1(VALU_DEP_1)
	v_fma_mix_f32 v31, -v31, v32, v38 op_sel_hi:[0,0,1]
	v_cndmask_b32_e32 v31, v31, v34, vcc_lo
	s_delay_alu instid0(VALU_DEP_1)
	v_cvt_f16_f32_e32 v33, v31
	v_add_co_u32 v31, vcc_lo, v15, s4
	v_add_co_ci_u32_e32 v32, vcc_lo, s5, v16, vcc_lo
	global_store_b16 v[31:32], v33, off
	s_or_b32 exec_lo, exec_lo, s0
	s_and_saveexec_b32 s0, s2
	s_cbranch_execz .LBB10_8
.LBB10_32:                              ;   in Loop: Header=BB10_9 Depth=1
	s_waitcnt vmcnt(1)
	v_cvt_f32_f16_e32 v31, v39
	s_waitcnt vmcnt(0)
	v_cvt_f32_f16_e32 v32, v41
	v_cvt_f32_f16_e32 v33, v42
	s_delay_alu instid0(VALU_DEP_1) | instskip(SKIP_1) | instid1(VALU_DEP_2)
	v_dual_sub_f32 v31, v32, v31 :: v_dual_sub_f32 v32, 1.0, v33
	v_cmp_lt_f32_e64 vcc_lo, |v33|, 0.5
	v_fma_mix_f32 v34, v31, v42, v39 op_sel_hi:[0,1,1]
	s_delay_alu instid0(VALU_DEP_3) | instskip(NEXT) | instid1(VALU_DEP_1)
	v_fma_mix_f32 v31, -v31, v32, v41 op_sel_hi:[0,0,1]
	v_cndmask_b32_e32 v31, v31, v34, vcc_lo
	s_delay_alu instid0(VALU_DEP_1)
	v_cvt_f16_f32_e32 v33, v31
	v_add_co_u32 v31, vcc_lo, v7, s4
	v_add_co_ci_u32_e32 v32, vcc_lo, s5, v8, vcc_lo
	global_store_b16 v[31:32], v33, off
	s_branch .LBB10_8
.LBB10_33:
	s_nop 0
	s_sendmsg sendmsg(MSG_DEALLOC_VGPRS)
	s_endpgm
	.section	.rodata,"a",@progbits
	.p2align	6, 0x0
	.amdhsa_kernel _ZN2at6native12_GLOBAL__N_125multi_tensor_apply_kernelINS1_18TensorListMetadataILi3EEENS1_20TernaryOpListFunctorIN3c104HalfELi3ELi3ELi0EEEJNS0_11LerpFunctorIfEEEEEvT_T0_DpT1_
		.amdhsa_group_segment_fixed_size 0
		.amdhsa_private_segment_fixed_size 0
		.amdhsa_kernarg_size 3408
		.amdhsa_user_sgpr_count 15
		.amdhsa_user_sgpr_dispatch_ptr 0
		.amdhsa_user_sgpr_queue_ptr 0
		.amdhsa_user_sgpr_kernarg_segment_ptr 1
		.amdhsa_user_sgpr_dispatch_id 0
		.amdhsa_user_sgpr_private_segment_size 0
		.amdhsa_wavefront_size32 1
		.amdhsa_uses_dynamic_stack 0
		.amdhsa_enable_private_segment 0
		.amdhsa_system_sgpr_workgroup_id_x 1
		.amdhsa_system_sgpr_workgroup_id_y 0
		.amdhsa_system_sgpr_workgroup_id_z 0
		.amdhsa_system_sgpr_workgroup_info 0
		.amdhsa_system_vgpr_workitem_id 0
		.amdhsa_next_free_vgpr 46
		.amdhsa_next_free_sgpr 27
		.amdhsa_reserve_vcc 1
		.amdhsa_float_round_mode_32 0
		.amdhsa_float_round_mode_16_64 0
		.amdhsa_float_denorm_mode_32 3
		.amdhsa_float_denorm_mode_16_64 3
		.amdhsa_dx10_clamp 1
		.amdhsa_ieee_mode 1
		.amdhsa_fp16_overflow 0
		.amdhsa_workgroup_processor_mode 1
		.amdhsa_memory_ordered 1
		.amdhsa_forward_progress 0
		.amdhsa_shared_vgpr_count 0
		.amdhsa_exception_fp_ieee_invalid_op 0
		.amdhsa_exception_fp_denorm_src 0
		.amdhsa_exception_fp_ieee_div_zero 0
		.amdhsa_exception_fp_ieee_overflow 0
		.amdhsa_exception_fp_ieee_underflow 0
		.amdhsa_exception_fp_ieee_inexact 0
		.amdhsa_exception_int_div_zero 0
	.end_amdhsa_kernel
	.section	.text._ZN2at6native12_GLOBAL__N_125multi_tensor_apply_kernelINS1_18TensorListMetadataILi3EEENS1_20TernaryOpListFunctorIN3c104HalfELi3ELi3ELi0EEEJNS0_11LerpFunctorIfEEEEEvT_T0_DpT1_,"axG",@progbits,_ZN2at6native12_GLOBAL__N_125multi_tensor_apply_kernelINS1_18TensorListMetadataILi3EEENS1_20TernaryOpListFunctorIN3c104HalfELi3ELi3ELi0EEEJNS0_11LerpFunctorIfEEEEEvT_T0_DpT1_,comdat
.Lfunc_end10:
	.size	_ZN2at6native12_GLOBAL__N_125multi_tensor_apply_kernelINS1_18TensorListMetadataILi3EEENS1_20TernaryOpListFunctorIN3c104HalfELi3ELi3ELi0EEEJNS0_11LerpFunctorIfEEEEEvT_T0_DpT1_, .Lfunc_end10-_ZN2at6native12_GLOBAL__N_125multi_tensor_apply_kernelINS1_18TensorListMetadataILi3EEENS1_20TernaryOpListFunctorIN3c104HalfELi3ELi3ELi0EEEJNS0_11LerpFunctorIfEEEEEvT_T0_DpT1_
                                        ; -- End function
	.section	.AMDGPU.csdata,"",@progbits
; Kernel info:
; codeLenInByte = 2400
; NumSgprs: 29
; NumVgprs: 46
; ScratchSize: 0
; MemoryBound: 0
; FloatMode: 240
; IeeeMode: 1
; LDSByteSize: 0 bytes/workgroup (compile time only)
; SGPRBlocks: 3
; VGPRBlocks: 5
; NumSGPRsForWavesPerEU: 29
; NumVGPRsForWavesPerEU: 46
; Occupancy: 16
; WaveLimiterHint : 0
; COMPUTE_PGM_RSRC2:SCRATCH_EN: 0
; COMPUTE_PGM_RSRC2:USER_SGPR: 15
; COMPUTE_PGM_RSRC2:TRAP_HANDLER: 0
; COMPUTE_PGM_RSRC2:TGID_X_EN: 1
; COMPUTE_PGM_RSRC2:TGID_Y_EN: 0
; COMPUTE_PGM_RSRC2:TGID_Z_EN: 0
; COMPUTE_PGM_RSRC2:TIDIG_COMP_CNT: 0
	.section	.text._ZN2at6native12_GLOBAL__N_125multi_tensor_apply_kernelINS1_18TensorListMetadataILi3EEENS1_20TernaryOpListFunctorIN3c108BFloat16ELi3ELi3ELi0EEEJNS0_11LerpFunctorIfEEEEEvT_T0_DpT1_,"axG",@progbits,_ZN2at6native12_GLOBAL__N_125multi_tensor_apply_kernelINS1_18TensorListMetadataILi3EEENS1_20TernaryOpListFunctorIN3c108BFloat16ELi3ELi3ELi0EEEJNS0_11LerpFunctorIfEEEEEvT_T0_DpT1_,comdat
	.globl	_ZN2at6native12_GLOBAL__N_125multi_tensor_apply_kernelINS1_18TensorListMetadataILi3EEENS1_20TernaryOpListFunctorIN3c108BFloat16ELi3ELi3ELi0EEEJNS0_11LerpFunctorIfEEEEEvT_T0_DpT1_ ; -- Begin function _ZN2at6native12_GLOBAL__N_125multi_tensor_apply_kernelINS1_18TensorListMetadataILi3EEENS1_20TernaryOpListFunctorIN3c108BFloat16ELi3ELi3ELi0EEEJNS0_11LerpFunctorIfEEEEEvT_T0_DpT1_
	.p2align	8
	.type	_ZN2at6native12_GLOBAL__N_125multi_tensor_apply_kernelINS1_18TensorListMetadataILi3EEENS1_20TernaryOpListFunctorIN3c108BFloat16ELi3ELi3ELi0EEEJNS0_11LerpFunctorIfEEEEEvT_T0_DpT1_,@function
_ZN2at6native12_GLOBAL__N_125multi_tensor_apply_kernelINS1_18TensorListMetadataILi3EEENS1_20TernaryOpListFunctorIN3c108BFloat16ELi3ELi3ELi0EEEJNS0_11LerpFunctorIfEEEEEvT_T0_DpT1_: ; @_ZN2at6native12_GLOBAL__N_125multi_tensor_apply_kernelINS1_18TensorListMetadataILi3EEENS1_20TernaryOpListFunctorIN3c108BFloat16ELi3ELi3ELi0EEEJNS0_11LerpFunctorIfEEEEEvT_T0_DpT1_
; %bb.0:
	v_mov_b32_e32 v1, s15
	s_add_u32 s2, s0, s15
	s_mul_hi_u32 s3, s15, 3
	s_mul_i32 s15, s15, 3
	s_addc_u32 s4, s1, 0
	global_load_u8 v1, v1, s[0:1] offset:1536
	s_add_u32 s2, s2, s15
	s_addc_u32 s3, s4, s3
	s_load_b32 s2, s[2:3], 0x740
	s_waitcnt vmcnt(0)
	v_readfirstlane_b32 s3, v1
	s_delay_alu instid0(VALU_DEP_1)
	s_lshl_b32 s3, s3, 3
	s_clause 0x3
	s_load_b64 s[14:15], s[0:1], s3 offset:0x180
	s_load_b64 s[12:13], s[0:1], s3 offset:0x300
	;; [unrolled: 1-line block ×4, first 2 shown]
	s_waitcnt lgkmcnt(0)
	s_ashr_i32 s3, s2, 31
	s_delay_alu instid0(SALU_CYCLE_1) | instskip(NEXT) | instid1(SALU_CYCLE_1)
	s_lshl_b64 s[8:9], s[2:3], 17
	s_add_u32 s6, s14, s8
	s_delay_alu instid0(SALU_CYCLE_1) | instskip(NEXT) | instid1(SALU_CYCLE_1)
	s_or_b32 s6, s12, s6
	s_and_b32 s7, s6, 7
	s_and_b32 s6, s16, 7
	s_cmp_lg_u32 s7, 0
	s_mov_b32 s7, 0
	s_cselect_b32 s20, -1, 0
	s_lshl_b64 s[2:3], s[2:3], 16
	s_mov_b32 s19, s7
	s_sub_u32 s10, s4, s2
	s_subb_u32 s11, s5, s3
	s_and_b32 s18, s4, 3
	s_delay_alu instid0(SALU_CYCLE_1) | instskip(NEXT) | instid1(SALU_CYCLE_1)
	s_or_b64 s[2:3], s[6:7], s[18:19]
	s_cmp_lg_u64 s[2:3], 0
	s_cselect_b32 s2, -1, 0
	s_delay_alu instid0(SALU_CYCLE_1) | instskip(NEXT) | instid1(SALU_CYCLE_1)
	s_or_b32 s2, s20, s2
	s_and_not1_b32 vcc_lo, exec_lo, s2
	s_mov_b32 s2, -1
	s_cbranch_vccz .LBB11_5
; %bb.1:
	v_dual_mov_b32 v2, 0 :: v_dual_lshlrev_b32 v1, 2, v0
	s_mov_b32 s7, exec_lo
	s_delay_alu instid0(VALU_DEP_1)
	v_cmpx_gt_i64_e64 s[10:11], v[1:2]
	s_cbranch_execz .LBB11_4
; %bb.2:
	s_load_b32 s2, s[0:1], 0xc5c
	v_lshlrev_b32_e32 v1, 3, v0
	s_mov_b32 s18, 0
	s_delay_alu instid0(VALU_DEP_1) | instskip(NEXT) | instid1(VALU_DEP_1)
	v_add_co_u32 v3, s3, s8, v1
	v_add_co_ci_u32_e64 v4, null, s9, 0, s3
	s_waitcnt lgkmcnt(0)
	s_and_b32 s2, s2, 0xffff
	s_delay_alu instid0(SALU_CYCLE_1)
	v_add_lshl_u32 v1, v0, s2, 2
	s_lshl_b32 s19, s2, 3
	s_lshl_b32 s20, s2, 2
.LBB11_3:                               ; =>This Inner Loop Header: Depth=1
	v_add_co_u32 v5, vcc_lo, s16, v3
	v_add_co_ci_u32_e32 v6, vcc_lo, s17, v4, vcc_lo
	v_add_co_u32 v7, vcc_lo, s14, v3
	v_add_co_ci_u32_e32 v8, vcc_lo, s15, v4, vcc_lo
	;; [unrolled: 2-line block ×3, first 2 shown]
	global_load_b64 v[11:12], v[5:6], off
	global_load_b64 v[7:8], v[7:8], off
	;; [unrolled: 1-line block ×3, first 2 shown]
	v_cmp_le_i64_e32 vcc_lo, s[10:11], v[1:2]
	v_cmp_lt_u64_e64 s2, 0xffff, v[1:2]
	v_add_co_u32 v3, s3, v3, s19
	s_delay_alu instid0(VALU_DEP_1) | instskip(SKIP_1) | instid1(VALU_DEP_4)
	v_add_co_ci_u32_e64 v4, s3, 0, v4, s3
	v_add_co_u32 v1, s3, v1, s20
	s_or_b32 s2, vcc_lo, s2
	v_add_co_ci_u32_e64 v2, s3, 0, v2, s3
	s_and_b32 s2, exec_lo, s2
	s_delay_alu instid0(SALU_CYCLE_1)
	s_or_b32 s18, s2, s18
	s_waitcnt vmcnt(0)
	v_and_b32_e32 v18, 0xffff0000, v9
	v_lshlrev_b32_e32 v13, 16, v11
	v_lshlrev_b32_e32 v15, 16, v9
	v_alignbit_b32 v9, v10, v9, 16
	s_delay_alu instid0(VALU_DEP_4)
	v_sub_f32_e32 v22, 1.0, v18
	v_and_b32_e32 v16, 0xffff0000, v11
	v_and_b32_e32 v17, 0xffff0000, v7
	v_lshlrev_b32_e32 v14, 16, v7
	v_alignbit_b32 v11, v12, v11, 16
	v_alignbit_b32 v7, v8, v7, 16
	s_delay_alu instid0(VALU_DEP_4) | instskip(NEXT) | instid1(VALU_DEP_4)
	v_sub_f32_e32 v21, v17, v16
	v_sub_f32_e32 v19, v14, v13
	s_delay_alu instid0(VALU_DEP_4) | instskip(NEXT) | instid1(VALU_DEP_4)
	v_and_b32_e32 v11, 0xffff0000, v11
	v_and_b32_e32 v7, 0xffff0000, v7
	v_and_b32_e32 v9, 0xffff0000, v9
	v_and_b32_e32 v10, 0xffff0000, v10
	v_and_b32_e32 v8, 0xffff0000, v8
	s_delay_alu instid0(VALU_DEP_2) | instskip(SKIP_3) | instid1(VALU_DEP_2)
	v_sub_f32_e32 v24, 1.0, v10
	v_dual_fmac_f32 v13, v19, v15 :: v_dual_and_b32 v12, 0xffff0000, v12
	v_sub_f32_e32 v20, 1.0, v15
	v_cmp_lt_f32_e64 s6, |v15|, 0.5
	v_fma_f32 v14, -v19, v20, v14
	v_sub_f32_e32 v19, 1.0, v9
	v_dual_sub_f32 v23, v8, v12 :: v_dual_fmac_f32 v16, v21, v18
	v_fma_f32 v17, -v21, v22, v17
	v_cmp_lt_f32_e64 s4, |v18|, 0.5
	v_sub_f32_e32 v18, v7, v11
	s_delay_alu instid0(VALU_DEP_4) | instskip(NEXT) | instid1(VALU_DEP_2)
	v_fma_f32 v8, -v23, v24, v8
	v_dual_fmac_f32 v11, v18, v9 :: v_dual_fmac_f32 v12, v23, v10
	v_cmp_lt_f32_e64 s5, |v10|, 0.5
	v_cndmask_b32_e64 v10, v14, v13, s6
	v_cndmask_b32_e64 v13, v17, v16, s4
	v_fma_f32 v7, -v18, v19, v7
	v_cmp_lt_f32_e64 s4, |v9|, 0.5
	v_cndmask_b32_e64 v8, v8, v12, s5
	v_bfe_u32 v9, v10, 16, 1
	v_bfe_u32 v12, v13, 16, 1
	v_cmp_o_f32_e64 s5, v10, v10
	v_cndmask_b32_e64 v7, v7, v11, s4
	v_bfe_u32 v11, v8, 16, 1
	v_add3_u32 v9, v10, v9, 0x7fff
	v_add3_u32 v12, v13, v12, 0x7fff
	v_cmp_o_f32_e64 s4, v13, v13
	v_bfe_u32 v14, v7, 16, 1
	v_add3_u32 v11, v8, v11, 0x7fff
	v_lshrrev_b32_e32 v9, 16, v9
	v_and_b32_e32 v12, 0xffff0000, v12
	s_delay_alu instid0(VALU_DEP_4) | instskip(NEXT) | instid1(VALU_DEP_4)
	v_add3_u32 v14, v7, v14, 0x7fff
	v_and_b32_e32 v11, 0xffff0000, v11
	s_delay_alu instid0(VALU_DEP_4) | instskip(NEXT) | instid1(VALU_DEP_4)
	v_cndmask_b32_e64 v9, 0x7fc0, v9, s5
	v_cndmask_b32_e64 v12, 0x7fc00000, v12, s4
	v_cmp_o_f32_e64 s4, v8, v8
	v_lshrrev_b32_e32 v10, 16, v14
	s_delay_alu instid0(VALU_DEP_3) | instskip(NEXT) | instid1(VALU_DEP_3)
	v_or_b32_e32 v9, v9, v12
	v_cndmask_b32_e64 v8, 0x7fc00000, v11, s4
	v_cmp_o_f32_e64 s4, v7, v7
	s_delay_alu instid0(VALU_DEP_1) | instskip(NEXT) | instid1(VALU_DEP_1)
	v_cndmask_b32_e64 v7, 0x7fc0, v10, s4
	v_or3_b32 v8, 0, v7, v8
	v_or3_b32 v7, v9, 0, 0
	global_store_b64 v[5:6], v[7:8], off
	s_and_not1_b32 exec_lo, exec_lo, s18
	s_cbranch_execnz .LBB11_3
.LBB11_4:
	s_or_b32 exec_lo, exec_lo, s7
	s_mov_b32 s2, 0
.LBB11_5:
	s_delay_alu instid0(SALU_CYCLE_1)
	s_and_not1_b32 vcc_lo, exec_lo, s2
	s_cbranch_vccnz .LBB11_33
; %bb.6:
	v_cmp_lt_i64_e64 s2, s[10:11], 1
	s_delay_alu instid0(VALU_DEP_1)
	s_and_b32 vcc_lo, exec_lo, s2
	s_cbranch_vccnz .LBB11_33
; %bb.7:
	s_load_b32 s0, s[0:1], 0xc5c
	v_dual_mov_b32 v2, 0 :: v_dual_lshlrev_b32 v1, 1, v0
	v_cmp_gt_u64_e64 s1, 0x10000, s[10:11]
	s_mov_b64 s[6:7], 0
	s_delay_alu instid0(VALU_DEP_2) | instskip(NEXT) | instid1(VALU_DEP_1)
	v_add_co_u32 v5, s2, s16, v1
	v_add_co_ci_u32_e64 v6, null, s17, 0, s2
	v_add_co_u32 v7, s2, s14, v1
	s_delay_alu instid0(VALU_DEP_1) | instskip(SKIP_1) | instid1(VALU_DEP_1)
	v_add_co_ci_u32_e64 v8, null, s15, 0, s2
	v_add_co_u32 v9, s2, s12, v1
	v_add_co_ci_u32_e64 v10, null, s13, 0, s2
	s_waitcnt lgkmcnt(0)
	s_and_b32 s0, s0, 0xffff
	s_and_b32 s1, s1, exec_lo
	v_mad_u64_u32 v[3:4], null, s0, 6, v[1:2]
	s_cselect_b32 s5, s11, 0
	s_cselect_b32 s4, s10, 0x10000
	s_lshl_b32 s18, s0, 2
	s_mul_i32 s2, s0, 3
	v_add_co_u32 v1, s3, s18, v1
	s_delay_alu instid0(VALU_DEP_2) | instskip(NEXT) | instid1(VALU_DEP_3)
	v_add_co_u32 v11, vcc_lo, s16, v3
	v_add_co_ci_u32_e32 v12, vcc_lo, s17, v4, vcc_lo
	v_add_co_u32 v13, vcc_lo, s14, v3
	v_add_co_ci_u32_e32 v14, vcc_lo, s15, v4, vcc_lo
	v_add_co_u32 v15, vcc_lo, s12, v3
	v_add_co_ci_u32_e64 v2, null, 0, 0, s3
	v_add_co_ci_u32_e32 v16, vcc_lo, s13, v4, vcc_lo
	v_add_co_u32 v17, s2, s2, v0
	v_add_co_u32 v19, vcc_lo, s16, v1
	v_add_co_ci_u32_e64 v18, null, 0, 0, s2
	v_add_co_u32 v23, s2, v0, s0
	v_add_co_ci_u32_e32 v20, vcc_lo, s17, v2, vcc_lo
	v_add_co_u32 v21, vcc_lo, s14, v1
	v_add_co_ci_u32_e32 v22, vcc_lo, s15, v2, vcc_lo
	v_add_co_u32 v24, vcc_lo, s12, v1
	v_lshlrev_b32_e32 v1, 1, v23
	s_lshl_b32 s1, s0, 1
	v_add_co_ci_u32_e32 v25, vcc_lo, s13, v2, vcc_lo
	v_add_co_u32 v27, s1, s1, v0
	s_delay_alu instid0(VALU_DEP_1) | instskip(SKIP_1) | instid1(VALU_DEP_1)
	v_add_co_ci_u32_e64 v28, null, 0, 0, s1
	v_add_co_u32 v29, s1, s16, v1
	v_add_co_ci_u32_e64 v30, null, s17, 0, s1
	v_add_co_u32 v31, s1, s14, v1
	s_delay_alu instid0(VALU_DEP_1)
	v_add_co_ci_u32_e64 v32, null, s15, 0, s1
	v_add_co_u32 v33, s1, s12, v1
	v_add_co_ci_u32_e64 v26, null, 0, 0, s2
	v_add_co_ci_u32_e64 v34, null, s13, 0, s1
	s_mov_b32 s12, 0
	s_lshl_b32 s13, s0, 3
	s_branch .LBB11_9
.LBB11_8:                               ;   in Loop: Header=BB11_9 Depth=1
	s_or_b32 exec_lo, exec_lo, s0
	v_add_co_u32 v5, vcc_lo, v5, s13
	v_add_co_ci_u32_e32 v6, vcc_lo, 0, v6, vcc_lo
	v_add_co_u32 v7, vcc_lo, v7, s13
	v_add_co_ci_u32_e32 v8, vcc_lo, 0, v8, vcc_lo
	;; [unrolled: 2-line block ×9, first 2 shown]
	s_add_u32 s6, s6, s18
	v_add_co_u32 v29, vcc_lo, v29, s13
	s_addc_u32 s7, s7, 0
	v_add_co_ci_u32_e32 v30, vcc_lo, 0, v30, vcc_lo
	v_cmp_ge_i64_e64 s0, s[6:7], s[10:11]
	v_cmp_lt_u64_e64 s1, 0xffff, s[6:7]
	v_add_co_u32 v31, vcc_lo, v31, s13
	v_add_co_ci_u32_e32 v32, vcc_lo, 0, v32, vcc_lo
	v_add_co_u32 v33, vcc_lo, v33, s13
	v_add_co_ci_u32_e32 v34, vcc_lo, 0, v34, vcc_lo
	s_or_b32 s0, s0, s1
	s_delay_alu instid0(SALU_CYCLE_1)
	s_and_b32 vcc_lo, exec_lo, s0
	s_cbranch_vccnz .LBB11_33
.LBB11_9:                               ; =>This Inner Loop Header: Depth=1
	v_add_co_u32 v3, s0, v0, s6
	s_delay_alu instid0(VALU_DEP_1) | instskip(SKIP_3) | instid1(VALU_DEP_3)
	v_add_co_ci_u32_e64 v4, null, 0, s7, s0
	v_mov_b32_e32 v1, 0
	s_waitcnt vmcnt(0)
	v_dual_mov_b32 v2, 0 :: v_dual_mov_b32 v35, 0
	v_cmp_gt_u64_e32 vcc_lo, s[4:5], v[3:4]
	s_delay_alu instid0(VALU_DEP_2)
	v_dual_mov_b32 v4, v2 :: v_dual_mov_b32 v3, v1
	s_and_saveexec_b32 s1, vcc_lo
	s_cbranch_execz .LBB11_11
; %bb.10:                               ;   in Loop: Header=BB11_9 Depth=1
	v_add_co_u32 v3, s0, v5, s8
	s_delay_alu instid0(VALU_DEP_1) | instskip(SKIP_2) | instid1(VALU_DEP_1)
	v_add_co_ci_u32_e64 v4, s0, s9, v6, s0
	global_load_u16 v36, v[3:4], off
	v_add_co_u32 v3, s0, v7, s8
	v_add_co_ci_u32_e64 v4, s0, s9, v8, s0
	global_load_u16 v35, v[3:4], off
	s_waitcnt vmcnt(1)
	v_dual_mov_b32 v4, s12 :: v_dual_and_b32 v3, 0xffff, v36
.LBB11_11:                              ;   in Loop: Header=BB11_9 Depth=1
	s_or_b32 exec_lo, exec_lo, s1
	s_and_saveexec_b32 s1, vcc_lo
	s_cbranch_execz .LBB11_13
; %bb.12:                               ;   in Loop: Header=BB11_9 Depth=1
	v_add_co_u32 v1, s0, v9, s8
	s_delay_alu instid0(VALU_DEP_1)
	v_add_co_ci_u32_e64 v2, s0, s9, v10, s0
	global_load_u16 v1, v[1:2], off
	s_waitcnt vmcnt(0)
	v_dual_mov_b32 v2, s12 :: v_dual_and_b32 v1, 0xffff, v1
.LBB11_13:                              ;   in Loop: Header=BB11_9 Depth=1
	s_or_b32 exec_lo, exec_lo, s1
	v_add_co_u32 v36, s0, v23, s6
	s_delay_alu instid0(VALU_DEP_1) | instskip(NEXT) | instid1(VALU_DEP_1)
	v_add_co_ci_u32_e64 v37, s0, s7, v26, s0
	v_cmp_gt_u64_e64 s0, s[4:5], v[36:37]
	v_mov_b32_e32 v36, 0
	s_delay_alu instid0(VALU_DEP_2)
	s_and_saveexec_b32 s2, s0
	s_cbranch_execz .LBB11_15
; %bb.14:                               ;   in Loop: Header=BB11_9 Depth=1
	v_add_co_u32 v36, s1, v29, s8
	s_delay_alu instid0(VALU_DEP_1) | instskip(SKIP_2) | instid1(VALU_DEP_1)
	v_add_co_ci_u32_e64 v37, s1, s9, v30, s1
	global_load_u16 v38, v[36:37], off
	v_add_co_u32 v36, s1, v31, s8
	v_add_co_ci_u32_e64 v37, s1, s9, v32, s1
	global_load_u16 v36, v[36:37], off
	s_waitcnt vmcnt(1)
	v_lshl_or_b32 v3, v38, 16, v3
.LBB11_15:                              ;   in Loop: Header=BB11_9 Depth=1
	s_or_b32 exec_lo, exec_lo, s2
	s_and_saveexec_b32 s2, s0
	s_cbranch_execz .LBB11_17
; %bb.16:                               ;   in Loop: Header=BB11_9 Depth=1
	v_add_co_u32 v37, s1, v33, s8
	s_delay_alu instid0(VALU_DEP_1)
	v_add_co_ci_u32_e64 v38, s1, s9, v34, s1
	global_load_u16 v37, v[37:38], off
	s_waitcnt vmcnt(0)
	v_lshl_or_b32 v1, v37, 16, v1
.LBB11_17:                              ;   in Loop: Header=BB11_9 Depth=1
	s_or_b32 exec_lo, exec_lo, s2
	v_add_co_u32 v37, s1, v27, s6
	s_delay_alu instid0(VALU_DEP_1) | instskip(NEXT) | instid1(VALU_DEP_1)
	v_add_co_ci_u32_e64 v38, s1, s7, v28, s1
	v_cmp_gt_u64_e64 s1, s[4:5], v[37:38]
	v_mov_b32_e32 v37, 0
	s_delay_alu instid0(VALU_DEP_2)
	s_and_saveexec_b32 s3, s1
	s_cbranch_execz .LBB11_19
; %bb.18:                               ;   in Loop: Header=BB11_9 Depth=1
	v_add_co_u32 v37, s2, v19, s8
	s_delay_alu instid0(VALU_DEP_1) | instskip(SKIP_2) | instid1(VALU_DEP_1)
	v_add_co_ci_u32_e64 v38, s2, s9, v20, s2
	global_load_u16 v39, v[37:38], off
	v_add_co_u32 v37, s2, v21, s8
	v_add_co_ci_u32_e64 v38, s2, s9, v22, s2
	global_load_u16 v37, v[37:38], off
	s_waitcnt vmcnt(1)
	v_or_b32_e32 v4, v39, v4
.LBB11_19:                              ;   in Loop: Header=BB11_9 Depth=1
	s_or_b32 exec_lo, exec_lo, s3
	s_and_saveexec_b32 s3, s1
	s_cbranch_execz .LBB11_21
; %bb.20:                               ;   in Loop: Header=BB11_9 Depth=1
	v_add_co_u32 v38, s2, v24, s8
	s_delay_alu instid0(VALU_DEP_1)
	v_add_co_ci_u32_e64 v39, s2, s9, v25, s2
	global_load_u16 v38, v[38:39], off
	s_waitcnt vmcnt(0)
	v_or_b32_e32 v2, v38, v2
.LBB11_21:                              ;   in Loop: Header=BB11_9 Depth=1
	s_or_b32 exec_lo, exec_lo, s3
	v_add_co_u32 v38, s2, v17, s6
	s_delay_alu instid0(VALU_DEP_1) | instskip(NEXT) | instid1(VALU_DEP_1)
	v_add_co_ci_u32_e64 v39, s2, s7, v18, s2
	v_cmp_gt_u64_e64 s2, s[4:5], v[38:39]
	v_mov_b32_e32 v38, 0
	s_delay_alu instid0(VALU_DEP_2)
	s_and_saveexec_b32 s14, s2
	s_cbranch_execnz .LBB11_27
; %bb.22:                               ;   in Loop: Header=BB11_9 Depth=1
	s_or_b32 exec_lo, exec_lo, s14
	s_and_saveexec_b32 s14, s2
	s_cbranch_execnz .LBB11_28
.LBB11_23:                              ;   in Loop: Header=BB11_9 Depth=1
	s_or_b32 exec_lo, exec_lo, s14
	s_and_saveexec_b32 s3, vcc_lo
	s_cbranch_execnz .LBB11_29
.LBB11_24:                              ;   in Loop: Header=BB11_9 Depth=1
	s_or_b32 exec_lo, exec_lo, s3
	s_and_saveexec_b32 s3, s0
	s_cbranch_execnz .LBB11_30
.LBB11_25:                              ;   in Loop: Header=BB11_9 Depth=1
	s_or_b32 exec_lo, exec_lo, s3
	s_and_saveexec_b32 s0, s1
	s_cbranch_execnz .LBB11_31
.LBB11_26:                              ;   in Loop: Header=BB11_9 Depth=1
	s_or_b32 exec_lo, exec_lo, s0
	s_and_saveexec_b32 s0, s2
	s_cbranch_execz .LBB11_8
	s_branch .LBB11_32
.LBB11_27:                              ;   in Loop: Header=BB11_9 Depth=1
	v_add_co_u32 v38, s3, v11, s8
	s_delay_alu instid0(VALU_DEP_1) | instskip(SKIP_3) | instid1(VALU_DEP_1)
	v_add_co_ci_u32_e64 v39, s3, s9, v12, s3
	v_mov_b32_e32 v40, 0
	global_load_d16_hi_b16 v40, v[38:39], off
	v_add_co_u32 v38, s3, v13, s8
	v_add_co_ci_u32_e64 v39, s3, s9, v14, s3
	global_load_u16 v38, v[38:39], off
	s_waitcnt vmcnt(1)
	v_or_b32_e32 v4, v40, v4
	s_or_b32 exec_lo, exec_lo, s14
	s_and_saveexec_b32 s14, s2
	s_cbranch_execz .LBB11_23
.LBB11_28:                              ;   in Loop: Header=BB11_9 Depth=1
	v_add_co_u32 v39, s3, v15, s8
	s_delay_alu instid0(VALU_DEP_1)
	v_add_co_ci_u32_e64 v40, s3, s9, v16, s3
	v_mov_b32_e32 v41, 0
	global_load_d16_hi_b16 v41, v[39:40], off
	s_waitcnt vmcnt(0)
	v_or_b32_e32 v2, v41, v2
	s_or_b32 exec_lo, exec_lo, s14
	s_and_saveexec_b32 s3, vcc_lo
	s_cbranch_execz .LBB11_24
.LBB11_29:                              ;   in Loop: Header=BB11_9 Depth=1
	v_lshlrev_b32_e32 v39, 16, v3
	v_lshlrev_b32_e32 v40, 16, v1
	s_waitcnt vmcnt(0)
	s_delay_alu instid0(VALU_DEP_1) | instskip(NEXT) | instid1(VALU_DEP_1)
	v_dual_sub_f32 v42, 1.0, v40 :: v_dual_lshlrev_b32 v35, 16, v35
	v_sub_f32_e32 v41, v35, v39
	v_cmp_lt_f32_e64 vcc_lo, |v40|, 0.5
	s_delay_alu instid0(VALU_DEP_2) | instskip(NEXT) | instid1(VALU_DEP_4)
	v_fmac_f32_e32 v39, v41, v40
	v_fma_f32 v35, -v41, v42, v35
	s_delay_alu instid0(VALU_DEP_1) | instskip(NEXT) | instid1(VALU_DEP_1)
	v_cndmask_b32_e32 v35, v35, v39, vcc_lo
	v_bfe_u32 v39, v35, 16, 1
	s_delay_alu instid0(VALU_DEP_1) | instskip(NEXT) | instid1(VALU_DEP_1)
	v_add3_u32 v39, v35, v39, 0x7fff
	v_lshrrev_b32_e32 v41, 16, v39
	v_add_co_u32 v39, vcc_lo, v5, s8
	v_add_co_ci_u32_e32 v40, vcc_lo, s9, v6, vcc_lo
	v_cmp_o_f32_e32 vcc_lo, v35, v35
	s_delay_alu instid0(VALU_DEP_4)
	v_cndmask_b32_e32 v35, 0x7fc0, v41, vcc_lo
	global_store_b16 v[39:40], v35, off
	s_or_b32 exec_lo, exec_lo, s3
	s_and_saveexec_b32 s3, s0
	s_cbranch_execz .LBB11_25
.LBB11_30:                              ;   in Loop: Header=BB11_9 Depth=1
	s_waitcnt vmcnt(0)
	v_and_b32_e32 v35, 0xffff0000, v3
	v_and_b32_e32 v39, 0xffff0000, v1
	s_delay_alu instid0(VALU_DEP_1) | instskip(NEXT) | instid1(VALU_DEP_1)
	v_dual_sub_f32 v41, 1.0, v39 :: v_dual_lshlrev_b32 v36, 16, v36
	v_sub_f32_e32 v40, v36, v35
	v_cmp_lt_f32_e64 vcc_lo, |v39|, 0.5
	s_delay_alu instid0(VALU_DEP_2) | instskip(NEXT) | instid1(VALU_DEP_4)
	v_fmac_f32_e32 v35, v40, v39
	v_fma_f32 v36, -v40, v41, v36
	s_delay_alu instid0(VALU_DEP_1) | instskip(NEXT) | instid1(VALU_DEP_1)
	v_cndmask_b32_e32 v35, v36, v35, vcc_lo
	v_bfe_u32 v36, v35, 16, 1
	v_cmp_o_f32_e32 vcc_lo, v35, v35
	s_delay_alu instid0(VALU_DEP_2) | instskip(NEXT) | instid1(VALU_DEP_1)
	v_add3_u32 v36, v35, v36, 0x7fff
	v_lshrrev_b32_e32 v36, 16, v36
	s_delay_alu instid0(VALU_DEP_1)
	v_cndmask_b32_e32 v39, 0x7fc0, v36, vcc_lo
	v_add_co_u32 v35, vcc_lo, v29, s8
	v_add_co_ci_u32_e32 v36, vcc_lo, s9, v30, vcc_lo
	global_store_b16 v[35:36], v39, off
	s_or_b32 exec_lo, exec_lo, s3
	s_and_saveexec_b32 s0, s1
	s_cbranch_execz .LBB11_26
.LBB11_31:                              ;   in Loop: Header=BB11_9 Depth=1
	v_alignbit_b32 v3, v4, v3, 16
	v_alignbit_b32 v1, v2, v1, 16
	s_waitcnt vmcnt(0)
	v_lshlrev_b32_e32 v35, 16, v37
	s_delay_alu instid0(VALU_DEP_3) | instskip(NEXT) | instid1(VALU_DEP_1)
	v_and_b32_e32 v3, 0xffff0000, v3
	v_dual_sub_f32 v36, v35, v3 :: v_dual_and_b32 v1, 0xffff0000, v1
	s_delay_alu instid0(VALU_DEP_1) | instskip(SKIP_1) | instid1(VALU_DEP_3)
	v_sub_f32_e32 v37, 1.0, v1
	v_cmp_lt_f32_e64 vcc_lo, |v1|, 0.5
	v_fmac_f32_e32 v3, v36, v1
	s_delay_alu instid0(VALU_DEP_3) | instskip(NEXT) | instid1(VALU_DEP_1)
	v_fma_f32 v35, -v36, v37, v35
	v_cndmask_b32_e32 v1, v35, v3, vcc_lo
	s_delay_alu instid0(VALU_DEP_1) | instskip(SKIP_1) | instid1(VALU_DEP_2)
	v_bfe_u32 v3, v1, 16, 1
	v_cmp_o_f32_e32 vcc_lo, v1, v1
	v_add3_u32 v3, v1, v3, 0x7fff
	s_delay_alu instid0(VALU_DEP_1) | instskip(NEXT) | instid1(VALU_DEP_1)
	v_lshrrev_b32_e32 v3, 16, v3
	v_cndmask_b32_e32 v1, 0x7fc0, v3, vcc_lo
	v_add_co_u32 v35, vcc_lo, v19, s8
	v_add_co_ci_u32_e32 v36, vcc_lo, s9, v20, vcc_lo
	global_store_b16 v[35:36], v1, off
	s_or_b32 exec_lo, exec_lo, s0
	s_and_saveexec_b32 s0, s2
	s_cbranch_execz .LBB11_8
.LBB11_32:                              ;   in Loop: Header=BB11_9 Depth=1
	v_and_b32_e32 v1, 0xffff0000, v4
	s_waitcnt vmcnt(0)
	v_lshlrev_b32_e32 v3, 16, v38
	v_and_b32_e32 v2, 0xffff0000, v2
	s_delay_alu instid0(VALU_DEP_1) | instskip(SKIP_1) | instid1(VALU_DEP_2)
	v_dual_sub_f32 v4, v3, v1 :: v_dual_sub_f32 v35, 1.0, v2
	v_cmp_lt_f32_e64 vcc_lo, |v2|, 0.5
	v_fmac_f32_e32 v1, v4, v2
	s_delay_alu instid0(VALU_DEP_3) | instskip(NEXT) | instid1(VALU_DEP_1)
	v_fma_f32 v3, -v4, v35, v3
	v_cndmask_b32_e32 v1, v3, v1, vcc_lo
	s_delay_alu instid0(VALU_DEP_1) | instskip(SKIP_1) | instid1(VALU_DEP_2)
	v_bfe_u32 v2, v1, 16, 1
	v_cmp_o_f32_e32 vcc_lo, v1, v1
	v_add3_u32 v2, v1, v2, 0x7fff
	s_delay_alu instid0(VALU_DEP_1) | instskip(NEXT) | instid1(VALU_DEP_1)
	v_lshrrev_b32_e32 v2, 16, v2
	v_cndmask_b32_e32 v3, 0x7fc0, v2, vcc_lo
	v_add_co_u32 v1, vcc_lo, v11, s8
	v_add_co_ci_u32_e32 v2, vcc_lo, s9, v12, vcc_lo
	global_store_b16 v[1:2], v3, off
	s_branch .LBB11_8
.LBB11_33:
	s_nop 0
	s_sendmsg sendmsg(MSG_DEALLOC_VGPRS)
	s_endpgm
	.section	.rodata,"a",@progbits
	.p2align	6, 0x0
	.amdhsa_kernel _ZN2at6native12_GLOBAL__N_125multi_tensor_apply_kernelINS1_18TensorListMetadataILi3EEENS1_20TernaryOpListFunctorIN3c108BFloat16ELi3ELi3ELi0EEEJNS0_11LerpFunctorIfEEEEEvT_T0_DpT1_
		.amdhsa_group_segment_fixed_size 0
		.amdhsa_private_segment_fixed_size 0
		.amdhsa_kernarg_size 3408
		.amdhsa_user_sgpr_count 15
		.amdhsa_user_sgpr_dispatch_ptr 0
		.amdhsa_user_sgpr_queue_ptr 0
		.amdhsa_user_sgpr_kernarg_segment_ptr 1
		.amdhsa_user_sgpr_dispatch_id 0
		.amdhsa_user_sgpr_private_segment_size 0
		.amdhsa_wavefront_size32 1
		.amdhsa_uses_dynamic_stack 0
		.amdhsa_enable_private_segment 0
		.amdhsa_system_sgpr_workgroup_id_x 1
		.amdhsa_system_sgpr_workgroup_id_y 0
		.amdhsa_system_sgpr_workgroup_id_z 0
		.amdhsa_system_sgpr_workgroup_info 0
		.amdhsa_system_vgpr_workitem_id 0
		.amdhsa_next_free_vgpr 43
		.amdhsa_next_free_sgpr 21
		.amdhsa_reserve_vcc 1
		.amdhsa_float_round_mode_32 0
		.amdhsa_float_round_mode_16_64 0
		.amdhsa_float_denorm_mode_32 3
		.amdhsa_float_denorm_mode_16_64 3
		.amdhsa_dx10_clamp 1
		.amdhsa_ieee_mode 1
		.amdhsa_fp16_overflow 0
		.amdhsa_workgroup_processor_mode 1
		.amdhsa_memory_ordered 1
		.amdhsa_forward_progress 0
		.amdhsa_shared_vgpr_count 0
		.amdhsa_exception_fp_ieee_invalid_op 0
		.amdhsa_exception_fp_denorm_src 0
		.amdhsa_exception_fp_ieee_div_zero 0
		.amdhsa_exception_fp_ieee_overflow 0
		.amdhsa_exception_fp_ieee_underflow 0
		.amdhsa_exception_fp_ieee_inexact 0
		.amdhsa_exception_int_div_zero 0
	.end_amdhsa_kernel
	.section	.text._ZN2at6native12_GLOBAL__N_125multi_tensor_apply_kernelINS1_18TensorListMetadataILi3EEENS1_20TernaryOpListFunctorIN3c108BFloat16ELi3ELi3ELi0EEEJNS0_11LerpFunctorIfEEEEEvT_T0_DpT1_,"axG",@progbits,_ZN2at6native12_GLOBAL__N_125multi_tensor_apply_kernelINS1_18TensorListMetadataILi3EEENS1_20TernaryOpListFunctorIN3c108BFloat16ELi3ELi3ELi0EEEJNS0_11LerpFunctorIfEEEEEvT_T0_DpT1_,comdat
.Lfunc_end11:
	.size	_ZN2at6native12_GLOBAL__N_125multi_tensor_apply_kernelINS1_18TensorListMetadataILi3EEENS1_20TernaryOpListFunctorIN3c108BFloat16ELi3ELi3ELi0EEEJNS0_11LerpFunctorIfEEEEEvT_T0_DpT1_, .Lfunc_end11-_ZN2at6native12_GLOBAL__N_125multi_tensor_apply_kernelINS1_18TensorListMetadataILi3EEENS1_20TernaryOpListFunctorIN3c108BFloat16ELi3ELi3ELi0EEEJNS0_11LerpFunctorIfEEEEEvT_T0_DpT1_
                                        ; -- End function
	.section	.AMDGPU.csdata,"",@progbits
; Kernel info:
; codeLenInByte = 2844
; NumSgprs: 23
; NumVgprs: 43
; ScratchSize: 0
; MemoryBound: 0
; FloatMode: 240
; IeeeMode: 1
; LDSByteSize: 0 bytes/workgroup (compile time only)
; SGPRBlocks: 2
; VGPRBlocks: 5
; NumSGPRsForWavesPerEU: 23
; NumVGPRsForWavesPerEU: 43
; Occupancy: 16
; WaveLimiterHint : 0
; COMPUTE_PGM_RSRC2:SCRATCH_EN: 0
; COMPUTE_PGM_RSRC2:USER_SGPR: 15
; COMPUTE_PGM_RSRC2:TRAP_HANDLER: 0
; COMPUTE_PGM_RSRC2:TGID_X_EN: 1
; COMPUTE_PGM_RSRC2:TGID_Y_EN: 0
; COMPUTE_PGM_RSRC2:TGID_Z_EN: 0
; COMPUTE_PGM_RSRC2:TIDIG_COMP_CNT: 0
	.section	.text._ZN2at6native12_GLOBAL__N_125multi_tensor_apply_kernelINS1_18TensorListMetadataILi3EEENS1_22TernaryOpScalarFunctorIdLi3ELi2ELi2EEEJNS0_11LerpFunctorIdEEdEEEvT_T0_DpT1_,"axG",@progbits,_ZN2at6native12_GLOBAL__N_125multi_tensor_apply_kernelINS1_18TensorListMetadataILi3EEENS1_22TernaryOpScalarFunctorIdLi3ELi2ELi2EEEJNS0_11LerpFunctorIdEEdEEEvT_T0_DpT1_,comdat
	.globl	_ZN2at6native12_GLOBAL__N_125multi_tensor_apply_kernelINS1_18TensorListMetadataILi3EEENS1_22TernaryOpScalarFunctorIdLi3ELi2ELi2EEEJNS0_11LerpFunctorIdEEdEEEvT_T0_DpT1_ ; -- Begin function _ZN2at6native12_GLOBAL__N_125multi_tensor_apply_kernelINS1_18TensorListMetadataILi3EEENS1_22TernaryOpScalarFunctorIdLi3ELi2ELi2EEEJNS0_11LerpFunctorIdEEdEEEvT_T0_DpT1_
	.p2align	8
	.type	_ZN2at6native12_GLOBAL__N_125multi_tensor_apply_kernelINS1_18TensorListMetadataILi3EEENS1_22TernaryOpScalarFunctorIdLi3ELi2ELi2EEEJNS0_11LerpFunctorIdEEdEEEvT_T0_DpT1_,@function
_ZN2at6native12_GLOBAL__N_125multi_tensor_apply_kernelINS1_18TensorListMetadataILi3EEENS1_22TernaryOpScalarFunctorIdLi3ELi2ELi2EEEJNS0_11LerpFunctorIdEEdEEEvT_T0_DpT1_: ; @_ZN2at6native12_GLOBAL__N_125multi_tensor_apply_kernelINS1_18TensorListMetadataILi3EEENS1_22TernaryOpScalarFunctorIdLi3ELi2ELi2EEEJNS0_11LerpFunctorIdEEdEEEvT_T0_DpT1_
; %bb.0:
	v_mov_b32_e32 v1, s15
	s_add_u32 s2, s0, s15
	s_mul_hi_u32 s3, s15, 3
	s_mul_i32 s15, s15, 3
	s_addc_u32 s4, s1, 0
	global_load_u8 v1, v1, s[0:1] offset:1536
	s_add_u32 s2, s2, s15
	s_addc_u32 s3, s4, s3
	s_mov_b32 s23, 0
	s_load_b32 s6, s[2:3], 0x740
	s_mov_b32 s25, s23
	s_waitcnt lgkmcnt(0)
	s_ashr_i32 s7, s6, 31
	s_delay_alu instid0(SALU_CYCLE_1) | instskip(SKIP_2) | instid1(VALU_DEP_1)
	s_lshl_b64 s[4:5], s[6:7], 19
	s_waitcnt vmcnt(0)
	v_readfirstlane_b32 s2, v1
	s_lshl_b32 s2, s2, 3
	s_clause 0x3
	s_load_b64 s[12:13], s[0:1], s2 offset:0x0
	s_load_b64 s[14:15], s[0:1], s2 offset:0x180
	;; [unrolled: 1-line block ×4, first 2 shown]
	s_waitcnt lgkmcnt(0)
	s_add_u32 s3, s12, s4
	s_addc_u32 s10, s13, s5
	s_and_b32 s22, s3, 31
	s_add_u32 s11, s14, s4
	s_addc_u32 s18, s15, s5
	s_add_u32 s19, s16, s4
	s_addc_u32 s20, s17, s5
	s_or_b32 s2, s19, s11
	s_delay_alu instid0(SALU_CYCLE_1) | instskip(NEXT) | instid1(SALU_CYCLE_1)
	s_and_b32 s2, s2, 31
	s_cmp_lg_u32 s2, 0
	s_cselect_b32 s2, -1, 0
	s_lshl_b64 s[6:7], s[6:7], 16
	s_delay_alu instid0(SALU_CYCLE_1) | instskip(SKIP_4) | instid1(SALU_CYCLE_1)
	s_sub_u32 s6, s8, s6
	s_subb_u32 s7, s9, s7
	s_and_b32 s24, s8, 3
	s_load_b64 s[8:9], s[0:1], 0xc50
	s_or_b64 s[22:23], s[22:23], s[24:25]
	s_cmp_lg_u64 s[22:23], 0
	s_cselect_b32 s21, -1, 0
	s_delay_alu instid0(SALU_CYCLE_1) | instskip(NEXT) | instid1(SALU_CYCLE_1)
	s_or_b32 s2, s2, s21
	s_and_not1_b32 vcc_lo, exec_lo, s2
	s_mov_b32 s2, -1
	s_cbranch_vccz .LBB12_21
; %bb.1:
	v_dual_mov_b32 v18, 0 :: v_dual_lshlrev_b32 v17, 2, v0
	s_mov_b32 s21, exec_lo
	s_delay_alu instid0(VALU_DEP_1)
	v_cmpx_gt_i64_e64 s[6:7], v[17:18]
	s_cbranch_execz .LBB12_20
; %bb.2:
	s_waitcnt lgkmcnt(0)
	v_add_f64 v[19:20], -s[8:9], 1.0
	v_cmp_nlt_f64_e64 s22, |s[8:9]|, 0.5
	s_load_b32 s2, s[0:1], 0xc64
	v_lshlrev_b32_e32 v23, 5, v0
	s_mov_b32 s23, 0
	s_waitcnt lgkmcnt(0)
	s_and_b32 s2, s2, 0xffff
	s_delay_alu instid0(SALU_CYCLE_1)
	v_add_lshl_u32 v17, v0, s2, 2
	s_lshl_b32 s24, s2, 2
	s_lshl_b32 s25, s2, 5
	s_branch .LBB12_4
.LBB12_3:                               ;   in Loop: Header=BB12_4 Depth=1
	v_cmp_le_i64_e32 vcc_lo, s[6:7], v[17:18]
	v_cmp_lt_u64_e64 s2, 0xffff, v[17:18]
	v_add_co_u32 v5, s26, s19, v23
	s_delay_alu instid0(VALU_DEP_1)
	v_add_co_ci_u32_e64 v6, null, s20, 0, s26
	s_clause 0x1
	global_store_b128 v[5:6], v[1:4], off
	global_store_b128 v[5:6], v[9:12], off offset:16
	s_or_b32 s2, vcc_lo, s2
	s_add_u32 s3, s3, s25
	s_addc_u32 s10, s10, 0
	s_add_u32 s19, s19, s25
	v_add_co_u32 v17, vcc_lo, v17, s24
	s_addc_u32 s20, s20, 0
	s_add_u32 s11, s11, s25
	v_add_co_ci_u32_e32 v18, vcc_lo, 0, v18, vcc_lo
	s_addc_u32 s18, s18, 0
	s_and_b32 s2, exec_lo, s2
	s_delay_alu instid0(SALU_CYCLE_1) | instskip(NEXT) | instid1(SALU_CYCLE_1)
	s_or_b32 s23, s2, s23
	s_and_not1_b32 exec_lo, exec_lo, s23
	s_cbranch_execz .LBB12_20
.LBB12_4:                               ; =>This Inner Loop Header: Depth=1
	v_add_co_u32 v5, s2, s3, v23
	s_delay_alu instid0(VALU_DEP_1) | instskip(SKIP_1) | instid1(VALU_DEP_1)
	v_add_co_ci_u32_e64 v6, null, s10, 0, s2
	v_add_co_u32 v9, s2, s11, v23
	v_add_co_ci_u32_e64 v10, null, s18, 0, s2
	global_load_b128 v[13:16], v[5:6], off
	global_load_b128 v[1:4], v[9:10], off
	global_load_b128 v[5:8], v[5:6], off offset:16
	global_load_b128 v[9:12], v[9:10], off offset:16
	s_and_b32 vcc_lo, exec_lo, s22
	s_waitcnt vmcnt(2)
	v_add_f64 v[21:22], v[1:2], -v[13:14]
	s_cbranch_vccz .LBB12_6
; %bb.5:                                ;   in Loop: Header=BB12_4 Depth=1
	s_delay_alu instid0(VALU_DEP_1)
	v_fma_f64 v[1:2], -v[19:20], v[21:22], v[1:2]
	s_cbranch_execz .LBB12_7
	s_branch .LBB12_8
.LBB12_6:                               ;   in Loop: Header=BB12_4 Depth=1
                                        ; implicit-def: $vgpr1_vgpr2
.LBB12_7:                               ;   in Loop: Header=BB12_4 Depth=1
	s_delay_alu instid0(VALU_DEP_1)
	v_fma_f64 v[1:2], v[21:22], s[8:9], v[13:14]
.LBB12_8:                               ;   in Loop: Header=BB12_4 Depth=1
	v_add_f64 v[13:14], v[3:4], -v[15:16]
	s_and_not1_b32 vcc_lo, exec_lo, s22
	s_cbranch_vccnz .LBB12_10
; %bb.9:                                ;   in Loop: Header=BB12_4 Depth=1
	s_delay_alu instid0(VALU_DEP_1)
	v_fma_f64 v[3:4], -v[19:20], v[13:14], v[3:4]
	s_cbranch_execz .LBB12_11
	s_branch .LBB12_12
.LBB12_10:                              ;   in Loop: Header=BB12_4 Depth=1
.LBB12_11:                              ;   in Loop: Header=BB12_4 Depth=1
	s_delay_alu instid0(VALU_DEP_1)
	v_fma_f64 v[3:4], v[13:14], s[8:9], v[15:16]
.LBB12_12:                              ;   in Loop: Header=BB12_4 Depth=1
	s_waitcnt vmcnt(0)
	v_add_f64 v[13:14], v[9:10], -v[5:6]
	s_and_not1_b32 vcc_lo, exec_lo, s22
	s_cbranch_vccnz .LBB12_14
; %bb.13:                               ;   in Loop: Header=BB12_4 Depth=1
	s_delay_alu instid0(VALU_DEP_1)
	v_fma_f64 v[9:10], -v[19:20], v[13:14], v[9:10]
	s_cbranch_execz .LBB12_15
	s_branch .LBB12_16
.LBB12_14:                              ;   in Loop: Header=BB12_4 Depth=1
                                        ; implicit-def: $vgpr9_vgpr10
.LBB12_15:                              ;   in Loop: Header=BB12_4 Depth=1
	s_delay_alu instid0(VALU_DEP_1)
	v_fma_f64 v[9:10], v[13:14], s[8:9], v[5:6]
.LBB12_16:                              ;   in Loop: Header=BB12_4 Depth=1
	v_add_f64 v[5:6], v[11:12], -v[7:8]
	s_and_not1_b32 vcc_lo, exec_lo, s22
	s_cbranch_vccnz .LBB12_18
; %bb.17:                               ;   in Loop: Header=BB12_4 Depth=1
	s_delay_alu instid0(VALU_DEP_1)
	v_fma_f64 v[11:12], -v[19:20], v[5:6], v[11:12]
	s_cbranch_execnz .LBB12_3
	s_branch .LBB12_19
.LBB12_18:                              ;   in Loop: Header=BB12_4 Depth=1
.LBB12_19:                              ;   in Loop: Header=BB12_4 Depth=1
	s_delay_alu instid0(VALU_DEP_1)
	v_fma_f64 v[11:12], v[5:6], s[8:9], v[7:8]
	s_branch .LBB12_3
.LBB12_20:
	s_or_b32 exec_lo, exec_lo, s21
	s_mov_b32 s2, 0
.LBB12_21:
	s_delay_alu instid0(SALU_CYCLE_1)
	s_and_not1_b32 vcc_lo, exec_lo, s2
	s_cbranch_vccnz .LBB12_57
; %bb.22:
	v_cmp_lt_i64_e64 s2, s[6:7], 1
	s_delay_alu instid0(VALU_DEP_1)
	s_and_b32 vcc_lo, exec_lo, s2
	s_cbranch_vccnz .LBB12_57
; %bb.23:
	s_load_b32 s0, s[0:1], 0xc64
	v_dual_mov_b32 v4, 0 :: v_dual_lshlrev_b32 v3, 3, v0
	s_waitcnt lgkmcnt(0)
	v_cmp_nlt_f64_e64 s18, |s[8:9]|, 0.5
	v_add_f64 v[1:2], -s[8:9], 1.0
	v_cmp_gt_u64_e64 s1, 0x10000, s[6:7]
	v_add_co_u32 v21, s2, s12, v3
	s_delay_alu instid0(VALU_DEP_1) | instskip(SKIP_1) | instid1(VALU_DEP_1)
	v_add_co_ci_u32_e64 v22, null, s13, 0, s2
	v_add_co_u32 v23, s2, s14, v3
	v_add_co_ci_u32_e64 v24, null, s15, 0, s2
	v_add_co_u32 v25, s2, s16, v3
	s_delay_alu instid0(VALU_DEP_1)
	v_add_co_ci_u32_e64 v26, null, s17, 0, s2
	s_and_b32 s0, s0, 0xffff
	s_and_b32 s1, s1, exec_lo
	v_mad_u64_u32 v[5:6], null, s0, 24, v[3:4]
	s_cselect_b32 s11, s7, 0
	s_cselect_b32 s10, s6, 0x10000
	s_lshl_b32 s3, s0, 4
	s_mul_i32 s2, s0, 3
	v_add_co_u32 v3, s3, s3, v3
	s_delay_alu instid0(VALU_DEP_2) | instskip(NEXT) | instid1(VALU_DEP_3)
	v_add_co_u32 v27, vcc_lo, s12, v5
	v_add_co_ci_u32_e32 v28, vcc_lo, s13, v6, vcc_lo
	v_add_co_u32 v29, vcc_lo, s14, v5
	v_add_co_ci_u32_e32 v30, vcc_lo, s15, v6, vcc_lo
	v_add_co_u32 v31, vcc_lo, s16, v5
	v_add_co_ci_u32_e64 v4, null, 0, 0, s3
	v_add_co_ci_u32_e32 v32, vcc_lo, s17, v6, vcc_lo
	v_add_co_u32 v33, s2, s2, v0
	v_add_co_u32 v35, vcc_lo, s12, v3
	v_add_co_ci_u32_e64 v34, null, 0, 0, s2
	v_add_co_u32 v39, s2, v0, s0
	v_add_co_ci_u32_e32 v36, vcc_lo, s13, v4, vcc_lo
	v_add_co_u32 v37, vcc_lo, s14, v3
	v_add_co_ci_u32_e32 v38, vcc_lo, s15, v4, vcc_lo
	v_add_co_u32 v40, vcc_lo, s16, v3
	v_lshlrev_b32_e32 v3, 3, v39
	s_lshl_b32 s1, s0, 1
	v_add_co_ci_u32_e32 v41, vcc_lo, s17, v4, vcc_lo
	v_add_co_u32 v43, s1, s1, v0
	s_delay_alu instid0(VALU_DEP_1) | instskip(SKIP_1) | instid1(VALU_DEP_1)
	v_add_co_ci_u32_e64 v44, null, 0, 0, s1
	v_add_co_u32 v45, s1, s12, v3
	v_add_co_ci_u32_e64 v46, null, s13, 0, s1
	v_add_co_u32 v47, s1, s14, v3
	s_delay_alu instid0(VALU_DEP_1)
	v_add_co_ci_u32_e64 v48, null, s15, 0, s1
	v_add_co_u32 v49, s1, s16, v3
	v_add_co_ci_u32_e64 v42, null, 0, 0, s2
	v_add_co_ci_u32_e64 v50, null, s17, 0, s1
	s_lshl_b32 s14, s0, 2
	s_lshl_b32 s15, s0, 5
	s_mov_b64 s[12:13], 0
	s_branch .LBB12_25
.LBB12_24:                              ;   in Loop: Header=BB12_25 Depth=1
	s_or_b32 exec_lo, exec_lo, s0
	v_add_co_u32 v21, vcc_lo, v21, s15
	v_add_co_ci_u32_e32 v22, vcc_lo, 0, v22, vcc_lo
	v_add_co_u32 v23, vcc_lo, v23, s15
	v_add_co_ci_u32_e32 v24, vcc_lo, 0, v24, vcc_lo
	;; [unrolled: 2-line block ×9, first 2 shown]
	s_add_u32 s12, s12, s14
	v_add_co_u32 v45, vcc_lo, v45, s15
	s_addc_u32 s13, s13, 0
	v_add_co_ci_u32_e32 v46, vcc_lo, 0, v46, vcc_lo
	v_cmp_ge_i64_e64 s0, s[12:13], s[6:7]
	v_cmp_lt_u64_e64 s1, 0xffff, s[12:13]
	v_add_co_u32 v47, vcc_lo, v47, s15
	v_add_co_ci_u32_e32 v48, vcc_lo, 0, v48, vcc_lo
	v_add_co_u32 v49, vcc_lo, v49, s15
	v_add_co_ci_u32_e32 v50, vcc_lo, 0, v50, vcc_lo
	s_or_b32 s0, s0, s1
	s_delay_alu instid0(SALU_CYCLE_1)
	s_and_b32 vcc_lo, exec_lo, s0
	s_cbranch_vccnz .LBB12_57
.LBB12_25:                              ; =>This Inner Loop Header: Depth=1
	v_add_co_u32 v5, s0, v0, s12
	s_delay_alu instid0(VALU_DEP_1) | instskip(SKIP_2) | instid1(VALU_DEP_3)
	v_add_co_ci_u32_e64 v6, null, 0, s13, s0
	v_mov_b32_e32 v3, 0
	v_mov_b32_e32 v4, 0
	v_cmp_gt_u64_e64 s0, s[10:11], v[5:6]
	s_delay_alu instid0(VALU_DEP_2) | instskip(SKIP_1) | instid1(VALU_DEP_3)
	v_dual_mov_b32 v8, v4 :: v_dual_mov_b32 v7, v3
	v_dual_mov_b32 v12, v4 :: v_dual_mov_b32 v11, v3
	s_and_saveexec_b32 s1, s0
	s_cbranch_execz .LBB12_27
; %bb.26:                               ;   in Loop: Header=BB12_25 Depth=1
	v_add_co_u32 v5, vcc_lo, v21, s4
	v_add_co_ci_u32_e32 v6, vcc_lo, s5, v22, vcc_lo
	v_add_co_u32 v9, vcc_lo, v23, s4
	v_add_co_ci_u32_e32 v10, vcc_lo, s5, v24, vcc_lo
	global_load_b64 v[7:8], v[5:6], off
	global_load_b64 v[11:12], v[9:10], off
.LBB12_27:                              ;   in Loop: Header=BB12_25 Depth=1
	s_or_b32 exec_lo, exec_lo, s1
	v_add_co_u32 v5, vcc_lo, v39, s12
	v_add_co_ci_u32_e32 v6, vcc_lo, s13, v42, vcc_lo
	v_dual_mov_b32 v14, v4 :: v_dual_mov_b32 v13, v3
	s_delay_alu instid0(VALU_DEP_2) | instskip(NEXT) | instid1(VALU_DEP_1)
	v_cmp_gt_u64_e64 s1, s[10:11], v[5:6]
	s_and_saveexec_b32 s2, s1
	s_cbranch_execz .LBB12_29
; %bb.28:                               ;   in Loop: Header=BB12_25 Depth=1
	v_add_co_u32 v3, vcc_lo, v45, s4
	v_add_co_ci_u32_e32 v4, vcc_lo, s5, v46, vcc_lo
	v_add_co_u32 v5, vcc_lo, v47, s4
	v_add_co_ci_u32_e32 v6, vcc_lo, s5, v48, vcc_lo
	global_load_b64 v[3:4], v[3:4], off
	global_load_b64 v[13:14], v[5:6], off
.LBB12_29:                              ;   in Loop: Header=BB12_25 Depth=1
	s_or_b32 exec_lo, exec_lo, s2
	v_add_co_u32 v9, vcc_lo, v43, s12
	v_add_co_ci_u32_e32 v10, vcc_lo, s13, v44, vcc_lo
	v_mov_b32_e32 v5, 0
	v_mov_b32_e32 v6, 0
	s_delay_alu instid0(VALU_DEP_3) | instskip(NEXT) | instid1(VALU_DEP_2)
	v_cmp_gt_u64_e64 s2, s[10:11], v[9:10]
	v_dual_mov_b32 v10, v6 :: v_dual_mov_b32 v9, v5
	v_dual_mov_b32 v16, v6 :: v_dual_mov_b32 v15, v5
	s_delay_alu instid0(VALU_DEP_3)
	s_and_saveexec_b32 s3, s2
	s_cbranch_execz .LBB12_31
; %bb.30:                               ;   in Loop: Header=BB12_25 Depth=1
	v_add_co_u32 v9, vcc_lo, v35, s4
	v_add_co_ci_u32_e32 v10, vcc_lo, s5, v36, vcc_lo
	v_add_co_u32 v15, vcc_lo, v37, s4
	v_add_co_ci_u32_e32 v16, vcc_lo, s5, v38, vcc_lo
	global_load_b64 v[9:10], v[9:10], off
	global_load_b64 v[15:16], v[15:16], off
.LBB12_31:                              ;   in Loop: Header=BB12_25 Depth=1
	s_or_b32 exec_lo, exec_lo, s3
	v_add_co_u32 v17, vcc_lo, v33, s12
	v_add_co_ci_u32_e32 v18, vcc_lo, s13, v34, vcc_lo
	s_delay_alu instid0(VALU_DEP_1) | instskip(SKIP_1) | instid1(VALU_DEP_2)
	v_cmp_gt_u64_e64 s3, s[10:11], v[17:18]
	v_dual_mov_b32 v18, v6 :: v_dual_mov_b32 v17, v5
	s_and_saveexec_b32 s16, s3
	s_cbranch_execz .LBB12_33
; %bb.32:                               ;   in Loop: Header=BB12_25 Depth=1
	v_add_co_u32 v5, vcc_lo, v27, s4
	v_add_co_ci_u32_e32 v6, vcc_lo, s5, v28, vcc_lo
	v_add_co_u32 v17, vcc_lo, v29, s4
	v_add_co_ci_u32_e32 v18, vcc_lo, s5, v30, vcc_lo
	global_load_b64 v[5:6], v[5:6], off
	global_load_b64 v[17:18], v[17:18], off
.LBB12_33:                              ;   in Loop: Header=BB12_25 Depth=1
	s_or_b32 exec_lo, exec_lo, s16
	s_waitcnt vmcnt(0)
	v_add_f64 v[19:20], v[11:12], -v[7:8]
	s_and_b32 vcc_lo, exec_lo, s18
	s_cbranch_vccz .LBB12_49
; %bb.34:                               ;   in Loop: Header=BB12_25 Depth=1
	s_delay_alu instid0(VALU_DEP_1)
	v_fma_f64 v[11:12], -v[1:2], v[19:20], v[11:12]
	s_cbranch_execnz .LBB12_36
.LBB12_35:                              ;   in Loop: Header=BB12_25 Depth=1
	s_delay_alu instid0(VALU_DEP_1)
	v_fma_f64 v[11:12], v[19:20], s[8:9], v[7:8]
.LBB12_36:                              ;   in Loop: Header=BB12_25 Depth=1
	v_add_f64 v[19:20], v[13:14], -v[3:4]
	s_and_not1_b32 vcc_lo, exec_lo, s18
	s_cbranch_vccnz .LBB12_50
; %bb.37:                               ;   in Loop: Header=BB12_25 Depth=1
	s_delay_alu instid0(VALU_DEP_1)
	v_fma_f64 v[7:8], -v[1:2], v[19:20], v[13:14]
	s_cbranch_execnz .LBB12_39
.LBB12_38:                              ;   in Loop: Header=BB12_25 Depth=1
	s_delay_alu instid0(VALU_DEP_1)
	v_fma_f64 v[7:8], v[19:20], s[8:9], v[3:4]
.LBB12_39:                              ;   in Loop: Header=BB12_25 Depth=1
	v_add_f64 v[13:14], v[15:16], -v[9:10]
	s_and_not1_b32 vcc_lo, exec_lo, s18
	s_cbranch_vccnz .LBB12_51
; %bb.40:                               ;   in Loop: Header=BB12_25 Depth=1
	s_delay_alu instid0(VALU_DEP_1)
	v_fma_f64 v[3:4], -v[1:2], v[13:14], v[15:16]
	s_cbranch_execnz .LBB12_42
.LBB12_41:                              ;   in Loop: Header=BB12_25 Depth=1
	s_delay_alu instid0(VALU_DEP_1)
	v_fma_f64 v[3:4], v[13:14], s[8:9], v[9:10]
.LBB12_42:                              ;   in Loop: Header=BB12_25 Depth=1
	v_add_f64 v[13:14], v[17:18], -v[5:6]
	s_and_not1_b32 vcc_lo, exec_lo, s18
	s_cbranch_vccnz .LBB12_52
; %bb.43:                               ;   in Loop: Header=BB12_25 Depth=1
	s_delay_alu instid0(VALU_DEP_1)
	v_fma_f64 v[9:10], -v[1:2], v[13:14], v[17:18]
	s_cbranch_execnz .LBB12_45
.LBB12_44:                              ;   in Loop: Header=BB12_25 Depth=1
	s_delay_alu instid0(VALU_DEP_1)
	v_fma_f64 v[9:10], v[13:14], s[8:9], v[5:6]
.LBB12_45:                              ;   in Loop: Header=BB12_25 Depth=1
	s_and_saveexec_b32 s16, s0
	s_delay_alu instid0(SALU_CYCLE_1)
	s_xor_b32 s0, exec_lo, s16
	s_cbranch_execnz .LBB12_53
; %bb.46:                               ;   in Loop: Header=BB12_25 Depth=1
	s_or_b32 exec_lo, exec_lo, s0
	s_and_saveexec_b32 s0, s1
	s_cbranch_execnz .LBB12_54
.LBB12_47:                              ;   in Loop: Header=BB12_25 Depth=1
	s_or_b32 exec_lo, exec_lo, s0
	s_and_saveexec_b32 s0, s2
	s_cbranch_execnz .LBB12_55
.LBB12_48:                              ;   in Loop: Header=BB12_25 Depth=1
	s_or_b32 exec_lo, exec_lo, s0
	s_and_saveexec_b32 s0, s3
	s_cbranch_execz .LBB12_24
	s_branch .LBB12_56
.LBB12_49:                              ;   in Loop: Header=BB12_25 Depth=1
                                        ; implicit-def: $vgpr11_vgpr12
	s_branch .LBB12_35
.LBB12_50:                              ;   in Loop: Header=BB12_25 Depth=1
                                        ; implicit-def: $vgpr7_vgpr8
	s_branch .LBB12_38
.LBB12_51:                              ;   in Loop: Header=BB12_25 Depth=1
                                        ; implicit-def: $vgpr3_vgpr4
	s_branch .LBB12_41
.LBB12_52:                              ;   in Loop: Header=BB12_25 Depth=1
                                        ; implicit-def: $vgpr9_vgpr10
	s_branch .LBB12_44
.LBB12_53:                              ;   in Loop: Header=BB12_25 Depth=1
	v_add_co_u32 v5, vcc_lo, v25, s4
	v_add_co_ci_u32_e32 v6, vcc_lo, s5, v26, vcc_lo
	global_store_b64 v[5:6], v[11:12], off
	s_or_b32 exec_lo, exec_lo, s0
	s_and_saveexec_b32 s0, s1
	s_cbranch_execz .LBB12_47
.LBB12_54:                              ;   in Loop: Header=BB12_25 Depth=1
	v_add_co_u32 v5, vcc_lo, v49, s4
	v_add_co_ci_u32_e32 v6, vcc_lo, s5, v50, vcc_lo
	global_store_b64 v[5:6], v[7:8], off
	s_or_b32 exec_lo, exec_lo, s0
	s_and_saveexec_b32 s0, s2
	s_cbranch_execz .LBB12_48
.LBB12_55:                              ;   in Loop: Header=BB12_25 Depth=1
	v_add_co_u32 v5, vcc_lo, v40, s4
	v_add_co_ci_u32_e32 v6, vcc_lo, s5, v41, vcc_lo
	global_store_b64 v[5:6], v[3:4], off
	s_or_b32 exec_lo, exec_lo, s0
	s_and_saveexec_b32 s0, s3
	s_cbranch_execz .LBB12_24
.LBB12_56:                              ;   in Loop: Header=BB12_25 Depth=1
	v_add_co_u32 v3, vcc_lo, v31, s4
	v_add_co_ci_u32_e32 v4, vcc_lo, s5, v32, vcc_lo
	global_store_b64 v[3:4], v[9:10], off
	s_branch .LBB12_24
.LBB12_57:
	s_nop 0
	s_sendmsg sendmsg(MSG_DEALLOC_VGPRS)
	s_endpgm
	.section	.rodata,"a",@progbits
	.p2align	6, 0x0
	.amdhsa_kernel _ZN2at6native12_GLOBAL__N_125multi_tensor_apply_kernelINS1_18TensorListMetadataILi3EEENS1_22TernaryOpScalarFunctorIdLi3ELi2ELi2EEEJNS0_11LerpFunctorIdEEdEEEvT_T0_DpT1_
		.amdhsa_group_segment_fixed_size 0
		.amdhsa_private_segment_fixed_size 0
		.amdhsa_kernarg_size 3416
		.amdhsa_user_sgpr_count 15
		.amdhsa_user_sgpr_dispatch_ptr 0
		.amdhsa_user_sgpr_queue_ptr 0
		.amdhsa_user_sgpr_kernarg_segment_ptr 1
		.amdhsa_user_sgpr_dispatch_id 0
		.amdhsa_user_sgpr_private_segment_size 0
		.amdhsa_wavefront_size32 1
		.amdhsa_uses_dynamic_stack 0
		.amdhsa_enable_private_segment 0
		.amdhsa_system_sgpr_workgroup_id_x 1
		.amdhsa_system_sgpr_workgroup_id_y 0
		.amdhsa_system_sgpr_workgroup_id_z 0
		.amdhsa_system_sgpr_workgroup_info 0
		.amdhsa_system_vgpr_workitem_id 0
		.amdhsa_next_free_vgpr 51
		.amdhsa_next_free_sgpr 27
		.amdhsa_reserve_vcc 1
		.amdhsa_float_round_mode_32 0
		.amdhsa_float_round_mode_16_64 0
		.amdhsa_float_denorm_mode_32 3
		.amdhsa_float_denorm_mode_16_64 3
		.amdhsa_dx10_clamp 1
		.amdhsa_ieee_mode 1
		.amdhsa_fp16_overflow 0
		.amdhsa_workgroup_processor_mode 1
		.amdhsa_memory_ordered 1
		.amdhsa_forward_progress 0
		.amdhsa_shared_vgpr_count 0
		.amdhsa_exception_fp_ieee_invalid_op 0
		.amdhsa_exception_fp_denorm_src 0
		.amdhsa_exception_fp_ieee_div_zero 0
		.amdhsa_exception_fp_ieee_overflow 0
		.amdhsa_exception_fp_ieee_underflow 0
		.amdhsa_exception_fp_ieee_inexact 0
		.amdhsa_exception_int_div_zero 0
	.end_amdhsa_kernel
	.section	.text._ZN2at6native12_GLOBAL__N_125multi_tensor_apply_kernelINS1_18TensorListMetadataILi3EEENS1_22TernaryOpScalarFunctorIdLi3ELi2ELi2EEEJNS0_11LerpFunctorIdEEdEEEvT_T0_DpT1_,"axG",@progbits,_ZN2at6native12_GLOBAL__N_125multi_tensor_apply_kernelINS1_18TensorListMetadataILi3EEENS1_22TernaryOpScalarFunctorIdLi3ELi2ELi2EEEJNS0_11LerpFunctorIdEEdEEEvT_T0_DpT1_,comdat
.Lfunc_end12:
	.size	_ZN2at6native12_GLOBAL__N_125multi_tensor_apply_kernelINS1_18TensorListMetadataILi3EEENS1_22TernaryOpScalarFunctorIdLi3ELi2ELi2EEEJNS0_11LerpFunctorIdEEdEEEvT_T0_DpT1_, .Lfunc_end12-_ZN2at6native12_GLOBAL__N_125multi_tensor_apply_kernelINS1_18TensorListMetadataILi3EEENS1_22TernaryOpScalarFunctorIdLi3ELi2ELi2EEEJNS0_11LerpFunctorIdEEdEEEvT_T0_DpT1_
                                        ; -- End function
	.section	.AMDGPU.csdata,"",@progbits
; Kernel info:
; codeLenInByte = 2076
; NumSgprs: 29
; NumVgprs: 51
; ScratchSize: 0
; MemoryBound: 1
; FloatMode: 240
; IeeeMode: 1
; LDSByteSize: 0 bytes/workgroup (compile time only)
; SGPRBlocks: 3
; VGPRBlocks: 6
; NumSGPRsForWavesPerEU: 29
; NumVGPRsForWavesPerEU: 51
; Occupancy: 16
; WaveLimiterHint : 0
; COMPUTE_PGM_RSRC2:SCRATCH_EN: 0
; COMPUTE_PGM_RSRC2:USER_SGPR: 15
; COMPUTE_PGM_RSRC2:TRAP_HANDLER: 0
; COMPUTE_PGM_RSRC2:TGID_X_EN: 1
; COMPUTE_PGM_RSRC2:TGID_Y_EN: 0
; COMPUTE_PGM_RSRC2:TGID_Z_EN: 0
; COMPUTE_PGM_RSRC2:TIDIG_COMP_CNT: 0
	.section	.text._ZN2at6native12_GLOBAL__N_125multi_tensor_apply_kernelINS1_18TensorListMetadataILi3EEENS1_22TernaryOpScalarFunctorIfLi3ELi2ELi2EEEJNS0_11LerpFunctorIfEEfEEEvT_T0_DpT1_,"axG",@progbits,_ZN2at6native12_GLOBAL__N_125multi_tensor_apply_kernelINS1_18TensorListMetadataILi3EEENS1_22TernaryOpScalarFunctorIfLi3ELi2ELi2EEEJNS0_11LerpFunctorIfEEfEEEvT_T0_DpT1_,comdat
	.globl	_ZN2at6native12_GLOBAL__N_125multi_tensor_apply_kernelINS1_18TensorListMetadataILi3EEENS1_22TernaryOpScalarFunctorIfLi3ELi2ELi2EEEJNS0_11LerpFunctorIfEEfEEEvT_T0_DpT1_ ; -- Begin function _ZN2at6native12_GLOBAL__N_125multi_tensor_apply_kernelINS1_18TensorListMetadataILi3EEENS1_22TernaryOpScalarFunctorIfLi3ELi2ELi2EEEJNS0_11LerpFunctorIfEEfEEEvT_T0_DpT1_
	.p2align	8
	.type	_ZN2at6native12_GLOBAL__N_125multi_tensor_apply_kernelINS1_18TensorListMetadataILi3EEENS1_22TernaryOpScalarFunctorIfLi3ELi2ELi2EEEJNS0_11LerpFunctorIfEEfEEEvT_T0_DpT1_,@function
_ZN2at6native12_GLOBAL__N_125multi_tensor_apply_kernelINS1_18TensorListMetadataILi3EEENS1_22TernaryOpScalarFunctorIfLi3ELi2ELi2EEEJNS0_11LerpFunctorIfEEfEEEvT_T0_DpT1_: ; @_ZN2at6native12_GLOBAL__N_125multi_tensor_apply_kernelINS1_18TensorListMetadataILi3EEENS1_22TernaryOpScalarFunctorIfLi3ELi2ELi2EEEJNS0_11LerpFunctorIfEEfEEEvT_T0_DpT1_
; %bb.0:
	v_mov_b32_e32 v1, s15
	s_add_u32 s2, s0, s15
	s_mul_hi_u32 s3, s15, 3
	s_mul_i32 s15, s15, 3
	s_addc_u32 s4, s1, 0
	global_load_u8 v1, v1, s[0:1] offset:1536
	s_add_u32 s2, s2, s15
	s_addc_u32 s3, s4, s3
	s_mov_b32 s23, 0
	s_load_b32 s2, s[2:3], 0x740
	s_mov_b32 s25, s23
	s_waitcnt vmcnt(0)
	v_readfirstlane_b32 s3, v1
	s_delay_alu instid0(VALU_DEP_1)
	s_lshl_b32 s3, s3, 3
	s_clause 0x3
	s_load_b64 s[12:13], s[0:1], s3 offset:0x0
	s_load_b64 s[14:15], s[0:1], s3 offset:0x180
	s_load_b64 s[16:17], s[0:1], s3 offset:0x300
	s_load_b64 s[4:5], s[0:1], s3 offset:0x480
	s_waitcnt lgkmcnt(0)
	s_ashr_i32 s3, s2, 31
	s_delay_alu instid0(SALU_CYCLE_1) | instskip(NEXT) | instid1(SALU_CYCLE_1)
	s_lshl_b64 s[6:7], s[2:3], 18
	s_add_u32 s10, s12, s6
	s_addc_u32 s11, s13, s7
	s_and_b32 s22, s10, 15
	s_add_u32 s18, s14, s6
	s_addc_u32 s19, s15, s7
	s_add_u32 s20, s16, s6
	s_addc_u32 s21, s17, s7
	s_or_b32 s8, s20, s18
	s_delay_alu instid0(SALU_CYCLE_1) | instskip(NEXT) | instid1(SALU_CYCLE_1)
	s_and_b32 s8, s8, 15
	s_cmp_lg_u32 s8, 0
	s_cselect_b32 s26, -1, 0
	s_lshl_b64 s[2:3], s[2:3], 16
	s_delay_alu instid0(SALU_CYCLE_1) | instskip(SKIP_3) | instid1(SALU_CYCLE_1)
	s_sub_u32 s8, s4, s2
	s_subb_u32 s9, s5, s3
	s_load_b32 s5, s[0:1], 0xc4c
	s_and_b32 s24, s4, 3
	s_or_b64 s[2:3], s[22:23], s[24:25]
	s_delay_alu instid0(SALU_CYCLE_1) | instskip(SKIP_1) | instid1(SALU_CYCLE_1)
	s_cmp_lg_u64 s[2:3], 0
	s_cselect_b32 s2, -1, 0
	s_or_b32 s2, s26, s2
	s_delay_alu instid0(SALU_CYCLE_1)
	s_and_not1_b32 vcc_lo, exec_lo, s2
	s_mov_b32 s2, -1
	s_cbranch_vccz .LBB13_5
; %bb.1:
	v_dual_mov_b32 v2, 0 :: v_dual_lshlrev_b32 v1, 2, v0
	s_mov_b32 s22, exec_lo
	s_delay_alu instid0(VALU_DEP_1)
	v_cmpx_gt_i64_e64 s[8:9], v[1:2]
	s_cbranch_execz .LBB13_4
; %bb.2:
	s_load_b32 s2, s[0:1], 0xc5c
	s_waitcnt lgkmcnt(0)
	v_cmp_lt_f32_e64 vcc_lo, |s5|, 0.5
	v_sub_f32_e64 v3, 1.0, s5
	v_lshlrev_b32_e32 v4, 4, v0
	s_and_b32 s2, s2, 0xffff
	s_delay_alu instid0(SALU_CYCLE_1)
	v_add_lshl_u32 v1, v0, s2, 2
	s_lshl_b32 s24, s2, 2
	s_lshl_b32 s25, s2, 4
.LBB13_3:                               ; =>This Inner Loop Header: Depth=1
	v_add_co_u32 v5, s2, s10, v4
	s_delay_alu instid0(VALU_DEP_1) | instskip(SKIP_1) | instid1(VALU_DEP_1)
	v_add_co_ci_u32_e64 v6, null, s11, 0, s2
	v_add_co_u32 v9, s2, s18, v4
	v_add_co_ci_u32_e64 v10, null, s19, 0, s2
	global_load_b128 v[5:8], v[5:6], off
	global_load_b128 v[9:12], v[9:10], off
	v_cmp_le_i64_e64 s2, s[8:9], v[1:2]
	v_cmp_lt_u64_e64 s3, 0xffff, v[1:2]
	v_add_co_u32 v13, s4, s20, v4
	s_delay_alu instid0(VALU_DEP_1) | instskip(SKIP_1) | instid1(VALU_DEP_4)
	v_add_co_ci_u32_e64 v14, null, s21, 0, s4
	v_add_co_u32 v1, s4, v1, s24
	s_or_b32 s2, s2, s3
	s_add_u32 s10, s10, s25
	s_addc_u32 s11, s11, 0
	s_add_u32 s20, s20, s25
	s_addc_u32 s21, s21, 0
	s_add_u32 s18, s18, s25
	v_add_co_ci_u32_e64 v2, s4, 0, v2, s4
	s_addc_u32 s19, s19, 0
	s_and_b32 s2, exec_lo, s2
	s_delay_alu instid0(SALU_CYCLE_1) | instskip(SKIP_3) | instid1(VALU_DEP_2)
	s_or_b32 s23, s2, s23
	s_waitcnt vmcnt(0)
	v_dual_sub_f32 v15, v9, v5 :: v_dual_sub_f32 v16, v10, v6
	v_dual_sub_f32 v17, v11, v7 :: v_dual_sub_f32 v18, v12, v8
	v_fma_f32 v5, s5, v15, v5
	v_fma_f32 v9, -v3, v15, v9
	s_delay_alu instid0(VALU_DEP_4)
	v_fma_f32 v6, s5, v16, v6
	v_fma_f32 v10, -v3, v16, v10
	v_fma_f32 v7, s5, v17, v7
	v_fma_f32 v11, -v3, v17, v11
	v_dual_fmac_f32 v8, s5, v18 :: v_dual_cndmask_b32 v5, v9, v5
	v_fma_f32 v12, -v3, v18, v12
	s_delay_alu instid0(VALU_DEP_3) | instskip(NEXT) | instid1(VALU_DEP_2)
	v_dual_cndmask_b32 v6, v10, v6 :: v_dual_cndmask_b32 v7, v11, v7
	v_cndmask_b32_e32 v8, v12, v8, vcc_lo
	global_store_b128 v[13:14], v[5:8], off
	s_and_not1_b32 exec_lo, exec_lo, s23
	s_cbranch_execnz .LBB13_3
.LBB13_4:
	s_or_b32 exec_lo, exec_lo, s22
	s_mov_b32 s2, 0
.LBB13_5:
	s_delay_alu instid0(SALU_CYCLE_1)
	s_and_not1_b32 vcc_lo, exec_lo, s2
	s_cbranch_vccnz .LBB13_25
; %bb.6:
	v_cmp_lt_i64_e64 s2, s[8:9], 1
	s_delay_alu instid0(VALU_DEP_1)
	s_and_b32 vcc_lo, exec_lo, s2
	s_cbranch_vccnz .LBB13_25
; %bb.7:
	s_load_b32 s1, s[0:1], 0xc5c
	v_dual_mov_b32 v15, 0 :: v_dual_lshlrev_b32 v14, 2, v0
	v_cmp_gt_u64_e64 s2, 0x10000, s[8:9]
	s_waitcnt lgkmcnt(0)
	v_cmp_lt_f32_e64 s0, |s5|, 0.5
	v_sub_f32_e64 v1, 1.0, s5
	v_add_co_u32 v2, s3, s12, v14
	s_delay_alu instid0(VALU_DEP_1) | instskip(SKIP_1) | instid1(VALU_DEP_1)
	v_add_co_ci_u32_e64 v3, null, s13, 0, s3
	v_add_co_u32 v4, s3, s14, v14
	v_add_co_ci_u32_e64 v5, null, s15, 0, s3
	v_add_co_u32 v6, s3, s16, v14
	s_delay_alu instid0(VALU_DEP_1)
	v_add_co_ci_u32_e64 v7, null, s17, 0, s3
	s_and_b32 s1, s1, 0xffff
	s_and_b32 s2, s2, exec_lo
	v_mad_u64_u32 v[12:13], null, s1, 12, v[14:15]
	s_cselect_b32 s11, s9, 0
	s_cselect_b32 s10, s8, 0x10000
	s_mul_i32 s3, s1, 3
	s_lshl_b32 s4, s1, 3
	s_lshl_b32 s2, s1, 1
	v_add_co_u32 v21, s4, s4, v14
	v_add_co_u32 v14, s3, s3, v0
	v_add_co_u32 v8, vcc_lo, s12, v12
	v_add_co_ci_u32_e64 v15, null, 0, 0, s3
	v_add_co_u32 v20, s3, v0, s1
	v_add_co_ci_u32_e32 v9, vcc_lo, s13, v13, vcc_lo
	v_add_co_u32 v10, vcc_lo, s14, v12
	v_add_co_ci_u32_e32 v11, vcc_lo, s15, v13, vcc_lo
	v_add_co_u32 v12, vcc_lo, s16, v12
	v_add_co_ci_u32_e64 v22, null, 0, 0, s4
	v_lshlrev_b32_e32 v30, 2, v20
	v_add_co_ci_u32_e32 v13, vcc_lo, s17, v13, vcc_lo
	v_add_co_u32 v16, vcc_lo, s12, v21
	v_add_co_u32 v24, s2, s2, v0
	v_add_co_ci_u32_e32 v17, vcc_lo, s13, v22, vcc_lo
	v_add_co_ci_u32_e64 v25, null, 0, 0, s2
	v_add_co_u32 v26, s2, s12, v30
	v_add_co_u32 v18, vcc_lo, s14, v21
	v_add_co_ci_u32_e64 v27, null, s13, 0, s2
	v_add_co_u32 v28, s2, s14, v30
	v_add_co_ci_u32_e32 v19, vcc_lo, s15, v22, vcc_lo
	v_add_co_u32 v21, vcc_lo, s16, v21
	v_add_co_ci_u32_e64 v29, null, s15, 0, s2
	v_add_co_u32 v30, s2, s16, v30
	v_add_co_ci_u32_e32 v22, vcc_lo, s17, v22, vcc_lo
	v_add_co_ci_u32_e64 v23, null, 0, 0, s3
	v_add_co_ci_u32_e64 v31, null, s17, 0, s2
	s_lshl_b32 s14, s1, 2
	s_lshl_b32 s15, s1, 4
	s_mov_b64 s[12:13], 0
	s_branch .LBB13_9
.LBB13_8:                               ;   in Loop: Header=BB13_9 Depth=1
	s_or_b32 exec_lo, exec_lo, s1
	v_add_co_u32 v2, vcc_lo, v2, s15
	v_add_co_ci_u32_e32 v3, vcc_lo, 0, v3, vcc_lo
	v_add_co_u32 v4, vcc_lo, v4, s15
	v_add_co_ci_u32_e32 v5, vcc_lo, 0, v5, vcc_lo
	;; [unrolled: 2-line block ×9, first 2 shown]
	s_add_u32 s12, s12, s14
	v_add_co_u32 v26, vcc_lo, v26, s15
	s_addc_u32 s13, s13, 0
	v_add_co_ci_u32_e32 v27, vcc_lo, 0, v27, vcc_lo
	v_cmp_ge_i64_e64 s1, s[12:13], s[8:9]
	v_cmp_lt_u64_e64 s2, 0xffff, s[12:13]
	v_add_co_u32 v28, vcc_lo, v28, s15
	v_add_co_ci_u32_e32 v29, vcc_lo, 0, v29, vcc_lo
	v_add_co_u32 v30, vcc_lo, v30, s15
	v_add_co_ci_u32_e32 v31, vcc_lo, 0, v31, vcc_lo
	s_or_b32 s1, s1, s2
	s_delay_alu instid0(SALU_CYCLE_1)
	s_and_b32 vcc_lo, exec_lo, s1
	s_cbranch_vccnz .LBB13_25
.LBB13_9:                               ; =>This Inner Loop Header: Depth=1
	s_waitcnt vmcnt(1)
	v_add_co_u32 v32, s1, v0, s12
	s_delay_alu instid0(VALU_DEP_1) | instskip(SKIP_2) | instid1(VALU_DEP_2)
	v_add_co_ci_u32_e64 v33, null, 0, s13, s1
	s_waitcnt vmcnt(0)
	v_mov_b32_e32 v34, 0
	v_cmp_gt_u64_e32 vcc_lo, s[10:11], v[32:33]
	v_mov_b32_e32 v33, 0
	s_and_saveexec_b32 s2, vcc_lo
	s_cbranch_execz .LBB13_11
; %bb.10:                               ;   in Loop: Header=BB13_9 Depth=1
	v_add_co_u32 v32, s1, v2, s6
	s_delay_alu instid0(VALU_DEP_1) | instskip(SKIP_1) | instid1(VALU_DEP_1)
	v_add_co_ci_u32_e64 v33, s1, s7, v3, s1
	v_add_co_u32 v34, s1, v4, s6
	v_add_co_ci_u32_e64 v35, s1, s7, v5, s1
	global_load_b32 v33, v[32:33], off
	global_load_b32 v34, v[34:35], off
.LBB13_11:                              ;   in Loop: Header=BB13_9 Depth=1
	s_or_b32 exec_lo, exec_lo, s2
	v_add_co_u32 v35, s1, v20, s12
	s_delay_alu instid0(VALU_DEP_1) | instskip(SKIP_1) | instid1(VALU_DEP_2)
	v_add_co_ci_u32_e64 v36, s1, s13, v23, s1
	v_mov_b32_e32 v32, 0
	v_cmp_gt_u64_e64 s1, s[10:11], v[35:36]
	v_dual_mov_b32 v35, 0 :: v_dual_mov_b32 v36, 0
	s_delay_alu instid0(VALU_DEP_2)
	s_and_saveexec_b32 s3, s1
	s_cbranch_execz .LBB13_13
; %bb.12:                               ;   in Loop: Header=BB13_9 Depth=1
	v_add_co_u32 v35, s2, v26, s6
	s_delay_alu instid0(VALU_DEP_1) | instskip(SKIP_1) | instid1(VALU_DEP_1)
	v_add_co_ci_u32_e64 v36, s2, s7, v27, s2
	v_add_co_u32 v37, s2, v28, s6
	v_add_co_ci_u32_e64 v38, s2, s7, v29, s2
	global_load_b32 v35, v[35:36], off
	global_load_b32 v36, v[37:38], off
.LBB13_13:                              ;   in Loop: Header=BB13_9 Depth=1
	s_or_b32 exec_lo, exec_lo, s3
	v_add_co_u32 v37, s2, v24, s12
	s_delay_alu instid0(VALU_DEP_1) | instskip(NEXT) | instid1(VALU_DEP_1)
	v_add_co_ci_u32_e64 v38, s2, s13, v25, s2
	v_cmp_gt_u64_e64 s2, s[10:11], v[37:38]
	v_mov_b32_e32 v37, 0
	s_delay_alu instid0(VALU_DEP_2)
	s_and_saveexec_b32 s4, s2
	s_cbranch_execz .LBB13_15
; %bb.14:                               ;   in Loop: Header=BB13_9 Depth=1
	v_add_co_u32 v37, s3, v16, s6
	s_delay_alu instid0(VALU_DEP_1) | instskip(SKIP_1) | instid1(VALU_DEP_1)
	v_add_co_ci_u32_e64 v38, s3, s7, v17, s3
	v_add_co_u32 v39, s3, v18, s6
	v_add_co_ci_u32_e64 v40, s3, s7, v19, s3
	global_load_b32 v32, v[37:38], off
	global_load_b32 v37, v[39:40], off
.LBB13_15:                              ;   in Loop: Header=BB13_9 Depth=1
	s_or_b32 exec_lo, exec_lo, s4
	v_add_co_u32 v38, s3, v14, s12
	s_delay_alu instid0(VALU_DEP_1) | instskip(NEXT) | instid1(VALU_DEP_1)
	v_add_co_ci_u32_e64 v39, s3, s13, v15, s3
	v_cmp_gt_u64_e64 s3, s[10:11], v[38:39]
	v_dual_mov_b32 v38, 0 :: v_dual_mov_b32 v39, 0
	s_delay_alu instid0(VALU_DEP_2)
	s_and_saveexec_b32 s16, s3
	s_cbranch_execnz .LBB13_20
; %bb.16:                               ;   in Loop: Header=BB13_9 Depth=1
	s_or_b32 exec_lo, exec_lo, s16
	s_and_saveexec_b32 s4, vcc_lo
	s_cbranch_execnz .LBB13_21
.LBB13_17:                              ;   in Loop: Header=BB13_9 Depth=1
	s_or_b32 exec_lo, exec_lo, s4
	s_and_saveexec_b32 s4, s1
	s_cbranch_execnz .LBB13_22
.LBB13_18:                              ;   in Loop: Header=BB13_9 Depth=1
	s_or_b32 exec_lo, exec_lo, s4
	s_and_saveexec_b32 s1, s2
	s_cbranch_execnz .LBB13_23
.LBB13_19:                              ;   in Loop: Header=BB13_9 Depth=1
	s_or_b32 exec_lo, exec_lo, s1
	s_and_saveexec_b32 s1, s3
	s_cbranch_execz .LBB13_8
	s_branch .LBB13_24
.LBB13_20:                              ;   in Loop: Header=BB13_9 Depth=1
	v_add_co_u32 v38, s4, v8, s6
	s_delay_alu instid0(VALU_DEP_1) | instskip(SKIP_1) | instid1(VALU_DEP_1)
	v_add_co_ci_u32_e64 v39, s4, s7, v9, s4
	v_add_co_u32 v40, s4, v10, s6
	v_add_co_ci_u32_e64 v41, s4, s7, v11, s4
	global_load_b32 v38, v[38:39], off
	global_load_b32 v39, v[40:41], off
	s_or_b32 exec_lo, exec_lo, s16
	s_and_saveexec_b32 s4, vcc_lo
	s_cbranch_execz .LBB13_17
.LBB13_21:                              ;   in Loop: Header=BB13_9 Depth=1
	s_waitcnt vmcnt(0)
	v_sub_f32_e32 v40, v34, v33
	s_delay_alu instid0(VALU_DEP_1) | instskip(SKIP_3) | instid1(VALU_DEP_3)
	v_fmac_f32_e32 v33, s5, v40
	v_fma_f32 v34, -v1, v40, v34
	v_add_co_u32 v40, vcc_lo, v6, s6
	v_add_co_ci_u32_e32 v41, vcc_lo, s7, v7, vcc_lo
	v_cndmask_b32_e64 v33, v34, v33, s0
	global_store_b32 v[40:41], v33, off
	s_or_b32 exec_lo, exec_lo, s4
	s_and_saveexec_b32 s4, s1
	s_cbranch_execz .LBB13_18
.LBB13_22:                              ;   in Loop: Header=BB13_9 Depth=1
	s_waitcnt vmcnt(0)
	v_sub_f32_e32 v33, v36, v35
	s_delay_alu instid0(VALU_DEP_1) | instskip(SKIP_1) | instid1(VALU_DEP_1)
	v_fmac_f32_e32 v35, s5, v33
	v_fma_f32 v33, -v1, v33, v36
	v_cndmask_b32_e64 v35, v33, v35, s0
	v_add_co_u32 v33, vcc_lo, v30, s6
	v_add_co_ci_u32_e32 v34, vcc_lo, s7, v31, vcc_lo
	global_store_b32 v[33:34], v35, off
	s_or_b32 exec_lo, exec_lo, s4
	s_and_saveexec_b32 s1, s2
	s_cbranch_execz .LBB13_19
.LBB13_23:                              ;   in Loop: Header=BB13_9 Depth=1
	s_waitcnt vmcnt(0)
	v_sub_f32_e32 v33, v37, v32
	s_delay_alu instid0(VALU_DEP_1) | instskip(SKIP_1) | instid1(VALU_DEP_1)
	v_fmac_f32_e32 v32, s5, v33
	v_fma_f32 v33, -v1, v33, v37
	v_cndmask_b32_e64 v34, v33, v32, s0
	v_add_co_u32 v32, vcc_lo, v21, s6
	v_add_co_ci_u32_e32 v33, vcc_lo, s7, v22, vcc_lo
	global_store_b32 v[32:33], v34, off
	s_or_b32 exec_lo, exec_lo, s1
	s_and_saveexec_b32 s1, s3
	s_cbranch_execz .LBB13_8
.LBB13_24:                              ;   in Loop: Header=BB13_9 Depth=1
	s_waitcnt vmcnt(0)
	v_sub_f32_e32 v32, v39, v38
	s_delay_alu instid0(VALU_DEP_1) | instskip(SKIP_1) | instid1(VALU_DEP_1)
	v_fmac_f32_e32 v38, s5, v32
	v_fma_f32 v32, -v1, v32, v39
	v_cndmask_b32_e64 v34, v32, v38, s0
	v_add_co_u32 v32, vcc_lo, v12, s6
	v_add_co_ci_u32_e32 v33, vcc_lo, s7, v13, vcc_lo
	global_store_b32 v[32:33], v34, off
	s_branch .LBB13_8
.LBB13_25:
	s_nop 0
	s_sendmsg sendmsg(MSG_DEALLOC_VGPRS)
	s_endpgm
	.section	.rodata,"a",@progbits
	.p2align	6, 0x0
	.amdhsa_kernel _ZN2at6native12_GLOBAL__N_125multi_tensor_apply_kernelINS1_18TensorListMetadataILi3EEENS1_22TernaryOpScalarFunctorIfLi3ELi2ELi2EEEJNS0_11LerpFunctorIfEEfEEEvT_T0_DpT1_
		.amdhsa_group_segment_fixed_size 0
		.amdhsa_private_segment_fixed_size 0
		.amdhsa_kernarg_size 3408
		.amdhsa_user_sgpr_count 15
		.amdhsa_user_sgpr_dispatch_ptr 0
		.amdhsa_user_sgpr_queue_ptr 0
		.amdhsa_user_sgpr_kernarg_segment_ptr 1
		.amdhsa_user_sgpr_dispatch_id 0
		.amdhsa_user_sgpr_private_segment_size 0
		.amdhsa_wavefront_size32 1
		.amdhsa_uses_dynamic_stack 0
		.amdhsa_enable_private_segment 0
		.amdhsa_system_sgpr_workgroup_id_x 1
		.amdhsa_system_sgpr_workgroup_id_y 0
		.amdhsa_system_sgpr_workgroup_id_z 0
		.amdhsa_system_sgpr_workgroup_info 0
		.amdhsa_system_vgpr_workitem_id 0
		.amdhsa_next_free_vgpr 42
		.amdhsa_next_free_sgpr 27
		.amdhsa_reserve_vcc 1
		.amdhsa_float_round_mode_32 0
		.amdhsa_float_round_mode_16_64 0
		.amdhsa_float_denorm_mode_32 3
		.amdhsa_float_denorm_mode_16_64 3
		.amdhsa_dx10_clamp 1
		.amdhsa_ieee_mode 1
		.amdhsa_fp16_overflow 0
		.amdhsa_workgroup_processor_mode 1
		.amdhsa_memory_ordered 1
		.amdhsa_forward_progress 0
		.amdhsa_shared_vgpr_count 0
		.amdhsa_exception_fp_ieee_invalid_op 0
		.amdhsa_exception_fp_denorm_src 0
		.amdhsa_exception_fp_ieee_div_zero 0
		.amdhsa_exception_fp_ieee_overflow 0
		.amdhsa_exception_fp_ieee_underflow 0
		.amdhsa_exception_fp_ieee_inexact 0
		.amdhsa_exception_int_div_zero 0
	.end_amdhsa_kernel
	.section	.text._ZN2at6native12_GLOBAL__N_125multi_tensor_apply_kernelINS1_18TensorListMetadataILi3EEENS1_22TernaryOpScalarFunctorIfLi3ELi2ELi2EEEJNS0_11LerpFunctorIfEEfEEEvT_T0_DpT1_,"axG",@progbits,_ZN2at6native12_GLOBAL__N_125multi_tensor_apply_kernelINS1_18TensorListMetadataILi3EEENS1_22TernaryOpScalarFunctorIfLi3ELi2ELi2EEEJNS0_11LerpFunctorIfEEfEEEvT_T0_DpT1_,comdat
.Lfunc_end13:
	.size	_ZN2at6native12_GLOBAL__N_125multi_tensor_apply_kernelINS1_18TensorListMetadataILi3EEENS1_22TernaryOpScalarFunctorIfLi3ELi2ELi2EEEJNS0_11LerpFunctorIfEEfEEEvT_T0_DpT1_, .Lfunc_end13-_ZN2at6native12_GLOBAL__N_125multi_tensor_apply_kernelINS1_18TensorListMetadataILi3EEENS1_22TernaryOpScalarFunctorIfLi3ELi2ELi2EEEJNS0_11LerpFunctorIfEEfEEEvT_T0_DpT1_
                                        ; -- End function
	.section	.AMDGPU.csdata,"",@progbits
; Kernel info:
; codeLenInByte = 1908
; NumSgprs: 29
; NumVgprs: 42
; ScratchSize: 0
; MemoryBound: 0
; FloatMode: 240
; IeeeMode: 1
; LDSByteSize: 0 bytes/workgroup (compile time only)
; SGPRBlocks: 3
; VGPRBlocks: 5
; NumSGPRsForWavesPerEU: 29
; NumVGPRsForWavesPerEU: 42
; Occupancy: 16
; WaveLimiterHint : 0
; COMPUTE_PGM_RSRC2:SCRATCH_EN: 0
; COMPUTE_PGM_RSRC2:USER_SGPR: 15
; COMPUTE_PGM_RSRC2:TRAP_HANDLER: 0
; COMPUTE_PGM_RSRC2:TGID_X_EN: 1
; COMPUTE_PGM_RSRC2:TGID_Y_EN: 0
; COMPUTE_PGM_RSRC2:TGID_Z_EN: 0
; COMPUTE_PGM_RSRC2:TIDIG_COMP_CNT: 0
	.section	.text._ZN2at6native12_GLOBAL__N_125multi_tensor_apply_kernelINS1_18TensorListMetadataILi3EEENS1_22TernaryOpScalarFunctorIN3c107complexIdEELi3ELi2ELi2EEEJNS0_11LerpFunctorIS8_EES8_EEEvT_T0_DpT1_,"axG",@progbits,_ZN2at6native12_GLOBAL__N_125multi_tensor_apply_kernelINS1_18TensorListMetadataILi3EEENS1_22TernaryOpScalarFunctorIN3c107complexIdEELi3ELi2ELi2EEEJNS0_11LerpFunctorIS8_EES8_EEEvT_T0_DpT1_,comdat
	.globl	_ZN2at6native12_GLOBAL__N_125multi_tensor_apply_kernelINS1_18TensorListMetadataILi3EEENS1_22TernaryOpScalarFunctorIN3c107complexIdEELi3ELi2ELi2EEEJNS0_11LerpFunctorIS8_EES8_EEEvT_T0_DpT1_ ; -- Begin function _ZN2at6native12_GLOBAL__N_125multi_tensor_apply_kernelINS1_18TensorListMetadataILi3EEENS1_22TernaryOpScalarFunctorIN3c107complexIdEELi3ELi2ELi2EEEJNS0_11LerpFunctorIS8_EES8_EEEvT_T0_DpT1_
	.p2align	8
	.type	_ZN2at6native12_GLOBAL__N_125multi_tensor_apply_kernelINS1_18TensorListMetadataILi3EEENS1_22TernaryOpScalarFunctorIN3c107complexIdEELi3ELi2ELi2EEEJNS0_11LerpFunctorIS8_EES8_EEEvT_T0_DpT1_,@function
_ZN2at6native12_GLOBAL__N_125multi_tensor_apply_kernelINS1_18TensorListMetadataILi3EEENS1_22TernaryOpScalarFunctorIN3c107complexIdEELi3ELi2ELi2EEEJNS0_11LerpFunctorIS8_EES8_EEEvT_T0_DpT1_: ; @_ZN2at6native12_GLOBAL__N_125multi_tensor_apply_kernelINS1_18TensorListMetadataILi3EEENS1_22TernaryOpScalarFunctorIN3c107complexIdEELi3ELi2ELi2EEEJNS0_11LerpFunctorIS8_EES8_EEEvT_T0_DpT1_
; %bb.0:
	v_mov_b32_e32 v1, s15
	s_add_u32 s2, s0, s15
	s_mul_hi_u32 s3, s15, 3
	s_mul_i32 s15, s15, 3
	s_addc_u32 s4, s1, 0
	global_load_u8 v1, v1, s[0:1] offset:1536
	s_add_u32 s2, s2, s15
	s_addc_u32 s3, s4, s3
	s_mov_b32 s25, 0
	s_load_b32 s2, s[2:3], 0x740
	s_mov_b32 s27, s25
	s_waitcnt vmcnt(0)
	v_readfirstlane_b32 s3, v1
	s_delay_alu instid0(VALU_DEP_1)
	s_lshl_b32 s3, s3, 3
	s_clause 0x3
	s_load_b64 s[4:5], s[0:1], s3 offset:0x0
	s_load_b64 s[18:19], s[0:1], s3 offset:0x180
	;; [unrolled: 1-line block ×4, first 2 shown]
	s_waitcnt lgkmcnt(0)
	s_ashr_i32 s3, s2, 31
	s_delay_alu instid0(SALU_CYCLE_1) | instskip(NEXT) | instid1(SALU_CYCLE_1)
	s_lshl_b64 s[6:7], s[2:3], 20
	s_add_u32 s14, s4, s6
	s_addc_u32 s15, s5, s7
	s_add_u32 s16, s18, s6
	s_addc_u32 s17, s19, s7
	;; [unrolled: 2-line block ×3, first 2 shown]
	s_or_b32 s10, s22, s16
	s_lshl_b64 s[2:3], s[2:3], 16
	s_and_b32 s10, s10, 63
	s_and_b32 s24, s14, 63
	s_cmp_lg_u32 s10, 0
	s_cselect_b32 s28, -1, 0
	s_sub_u32 s12, s8, s2
	s_subb_u32 s13, s9, s3
	s_and_b32 s26, s8, 3
	s_load_b128 s[8:11], s[0:1], 0xc50
	s_or_b64 s[2:3], s[24:25], s[26:27]
	s_delay_alu instid0(SALU_CYCLE_1) | instskip(SKIP_1) | instid1(SALU_CYCLE_1)
	s_cmp_lg_u64 s[2:3], 0
	s_cselect_b32 s2, -1, 0
	s_or_b32 s2, s28, s2
	s_delay_alu instid0(SALU_CYCLE_1)
	s_and_not1_b32 vcc_lo, exec_lo, s2
	s_mov_b32 s2, -1
	s_cbranch_vccz .LBB14_21
; %bb.1:
	v_dual_mov_b32 v34, 0 :: v_dual_lshlrev_b32 v33, 2, v0
	s_mov_b32 s24, exec_lo
	s_delay_alu instid0(VALU_DEP_1)
	v_cmpx_gt_i64_e64 s[12:13], v[33:34]
	s_cbranch_execz .LBB14_20
; %bb.2:
	s_waitcnt lgkmcnt(0)
	v_mul_f64 v[1:2], s[10:11], s[10:11]
	s_load_b32 s2, s[0:1], 0xc6c
	v_add_f64 v[35:36], -s[8:9], 1.0
	v_add_f64 v[37:38], -s[10:11], 0
	v_lshlrev_b32_e32 v43, 6, v0
	s_waitcnt lgkmcnt(0)
	s_and_b32 s3, s2, 0xffff
	s_delay_alu instid0(SALU_CYCLE_1) | instskip(SKIP_3) | instid1(VALU_DEP_1)
	v_add_lshl_u32 v33, v0, s3, 2
	s_lshl_b32 s26, s3, 2
	s_lshl_b32 s27, s3, 6
	v_fma_f64 v[1:2], s[8:9], s[8:9], v[1:2]
	v_cmp_ngt_f64_e64 s2, 0x3fd00000, v[1:2]
	s_branch .LBB14_4
.LBB14_3:                               ;   in Loop: Header=BB14_4 Depth=1
	v_cmp_le_i64_e32 vcc_lo, s[12:13], v[33:34]
	v_cmp_lt_u64_e64 s3, 0xffff, v[33:34]
	v_add_co_u32 v5, s28, s22, v43
	s_delay_alu instid0(VALU_DEP_1)
	v_add_co_ci_u32_e64 v6, null, s23, 0, s28
	s_clause 0x1
	global_store_b128 v[5:6], v[1:4], off
	global_store_b128 v[5:6], v[9:12], off offset:16
	s_or_b32 s3, vcc_lo, s3
	s_add_u32 s14, s14, s27
	s_addc_u32 s15, s15, 0
	s_add_u32 s22, s22, s27
	v_add_co_u32 v33, vcc_lo, v33, s26
	s_addc_u32 s23, s23, 0
	s_add_u32 s16, s16, s27
	v_add_co_ci_u32_e32 v34, vcc_lo, 0, v34, vcc_lo
	s_addc_u32 s17, s17, 0
	s_and_b32 s3, exec_lo, s3
	s_clause 0x1
	global_store_b128 v[5:6], v[21:24], off offset:32
	global_store_b128 v[5:6], v[13:16], off offset:48
	s_or_b32 s25, s3, s25
	s_delay_alu instid0(SALU_CYCLE_1)
	s_and_not1_b32 exec_lo, exec_lo, s25
	s_cbranch_execz .LBB14_20
.LBB14_4:                               ; =>This Inner Loop Header: Depth=1
	v_add_co_u32 v13, s3, s14, v43
	s_delay_alu instid0(VALU_DEP_1) | instskip(SKIP_1) | instid1(VALU_DEP_1)
	v_add_co_ci_u32_e64 v14, null, s15, 0, s3
	v_add_co_u32 v21, s3, s16, v43
	v_add_co_ci_u32_e64 v22, null, s17, 0, s3
	global_load_b128 v[29:32], v[13:14], off
	global_load_b128 v[1:4], v[21:22], off
	global_load_b128 v[25:28], v[13:14], off offset:16
	global_load_b128 v[9:12], v[21:22], off offset:16
	s_clause 0x1
	global_load_b128 v[5:8], v[13:14], off offset:48
	global_load_b128 v[17:20], v[13:14], off offset:32
	s_clause 0x1
	global_load_b128 v[13:16], v[21:22], off offset:48
	global_load_b128 v[21:24], v[21:22], off offset:32
	s_and_b32 vcc_lo, exec_lo, s2
	s_waitcnt vmcnt(6)
	v_add_f64 v[39:40], v[1:2], -v[29:30]
	v_add_f64 v[41:42], v[3:4], -v[31:32]
	s_cbranch_vccz .LBB14_6
; %bb.5:                                ;   in Loop: Header=BB14_4 Depth=1
	s_delay_alu instid0(VALU_DEP_1) | instskip(SKIP_1) | instid1(VALU_DEP_2)
	v_mul_f64 v[44:45], v[37:38], v[41:42]
	v_mul_f64 v[46:47], v[35:36], v[41:42]
	v_fma_f64 v[44:45], v[35:36], v[39:40], -v[44:45]
	s_delay_alu instid0(VALU_DEP_2) | instskip(NEXT) | instid1(VALU_DEP_2)
	v_fma_f64 v[46:47], v[37:38], v[39:40], v[46:47]
	v_add_f64 v[1:2], v[1:2], -v[44:45]
	s_delay_alu instid0(VALU_DEP_2)
	v_add_f64 v[3:4], v[3:4], -v[46:47]
	s_cbranch_execz .LBB14_7
	s_branch .LBB14_8
.LBB14_6:                               ;   in Loop: Header=BB14_4 Depth=1
                                        ; implicit-def: $vgpr3_vgpr4
.LBB14_7:                               ;   in Loop: Header=BB14_4 Depth=1
	s_delay_alu instid0(VALU_DEP_1) | instskip(SKIP_1) | instid1(VALU_DEP_2)
	v_mul_f64 v[1:2], s[10:11], v[41:42]
	v_mul_f64 v[3:4], s[8:9], v[41:42]
	v_fma_f64 v[1:2], s[8:9], v[39:40], -v[1:2]
	s_delay_alu instid0(VALU_DEP_2) | instskip(NEXT) | instid1(VALU_DEP_2)
	v_fma_f64 v[3:4], s[10:11], v[39:40], v[3:4]
	v_add_f64 v[1:2], v[29:30], v[1:2]
	s_delay_alu instid0(VALU_DEP_2)
	v_add_f64 v[3:4], v[31:32], v[3:4]
.LBB14_8:                               ;   in Loop: Header=BB14_4 Depth=1
	s_waitcnt vmcnt(4)
	v_add_f64 v[29:30], v[9:10], -v[25:26]
	v_add_f64 v[31:32], v[11:12], -v[27:28]
	s_and_not1_b32 vcc_lo, exec_lo, s2
	s_cbranch_vccnz .LBB14_10
; %bb.9:                                ;   in Loop: Header=BB14_4 Depth=1
	s_delay_alu instid0(VALU_DEP_1) | instskip(SKIP_1) | instid1(VALU_DEP_2)
	v_mul_f64 v[39:40], v[37:38], v[31:32]
	v_mul_f64 v[41:42], v[35:36], v[31:32]
	v_fma_f64 v[39:40], v[35:36], v[29:30], -v[39:40]
	s_delay_alu instid0(VALU_DEP_2) | instskip(NEXT) | instid1(VALU_DEP_2)
	v_fma_f64 v[41:42], v[37:38], v[29:30], v[41:42]
	v_add_f64 v[9:10], v[9:10], -v[39:40]
	s_delay_alu instid0(VALU_DEP_2)
	v_add_f64 v[11:12], v[11:12], -v[41:42]
	s_cbranch_execz .LBB14_11
	s_branch .LBB14_12
.LBB14_10:                              ;   in Loop: Header=BB14_4 Depth=1
                                        ; implicit-def: $vgpr11_vgpr12
.LBB14_11:                              ;   in Loop: Header=BB14_4 Depth=1
	s_delay_alu instid0(VALU_DEP_1) | instskip(SKIP_1) | instid1(VALU_DEP_2)
	v_mul_f64 v[9:10], s[10:11], v[31:32]
	v_mul_f64 v[11:12], s[8:9], v[31:32]
	v_fma_f64 v[9:10], s[8:9], v[29:30], -v[9:10]
	s_delay_alu instid0(VALU_DEP_2) | instskip(NEXT) | instid1(VALU_DEP_2)
	v_fma_f64 v[11:12], s[10:11], v[29:30], v[11:12]
	v_add_f64 v[9:10], v[25:26], v[9:10]
	s_delay_alu instid0(VALU_DEP_2)
	v_add_f64 v[11:12], v[27:28], v[11:12]
.LBB14_12:                              ;   in Loop: Header=BB14_4 Depth=1
	s_waitcnt vmcnt(0)
	v_add_f64 v[25:26], v[21:22], -v[17:18]
	v_add_f64 v[27:28], v[23:24], -v[19:20]
	s_and_not1_b32 vcc_lo, exec_lo, s2
	s_cbranch_vccnz .LBB14_14
; %bb.13:                               ;   in Loop: Header=BB14_4 Depth=1
	s_delay_alu instid0(VALU_DEP_1) | instskip(SKIP_1) | instid1(VALU_DEP_2)
	v_mul_f64 v[29:30], v[37:38], v[27:28]
	v_mul_f64 v[31:32], v[35:36], v[27:28]
	v_fma_f64 v[29:30], v[35:36], v[25:26], -v[29:30]
	s_delay_alu instid0(VALU_DEP_2) | instskip(NEXT) | instid1(VALU_DEP_2)
	v_fma_f64 v[31:32], v[37:38], v[25:26], v[31:32]
	v_add_f64 v[21:22], v[21:22], -v[29:30]
	s_delay_alu instid0(VALU_DEP_2)
	v_add_f64 v[23:24], v[23:24], -v[31:32]
	s_cbranch_execz .LBB14_15
	s_branch .LBB14_16
.LBB14_14:                              ;   in Loop: Header=BB14_4 Depth=1
                                        ; implicit-def: $vgpr23_vgpr24
.LBB14_15:                              ;   in Loop: Header=BB14_4 Depth=1
	s_delay_alu instid0(VALU_DEP_1) | instskip(SKIP_1) | instid1(VALU_DEP_2)
	v_mul_f64 v[21:22], s[10:11], v[27:28]
	v_mul_f64 v[23:24], s[8:9], v[27:28]
	v_fma_f64 v[21:22], s[8:9], v[25:26], -v[21:22]
	s_delay_alu instid0(VALU_DEP_2) | instskip(NEXT) | instid1(VALU_DEP_2)
	v_fma_f64 v[23:24], s[10:11], v[25:26], v[23:24]
	v_add_f64 v[21:22], v[17:18], v[21:22]
	s_delay_alu instid0(VALU_DEP_2)
	v_add_f64 v[23:24], v[19:20], v[23:24]
.LBB14_16:                              ;   in Loop: Header=BB14_4 Depth=1
	v_add_f64 v[17:18], v[13:14], -v[5:6]
	v_add_f64 v[19:20], v[15:16], -v[7:8]
	s_and_not1_b32 vcc_lo, exec_lo, s2
	s_cbranch_vccnz .LBB14_18
; %bb.17:                               ;   in Loop: Header=BB14_4 Depth=1
	s_delay_alu instid0(VALU_DEP_1) | instskip(SKIP_1) | instid1(VALU_DEP_2)
	v_mul_f64 v[25:26], v[37:38], v[19:20]
	v_mul_f64 v[27:28], v[35:36], v[19:20]
	v_fma_f64 v[25:26], v[35:36], v[17:18], -v[25:26]
	s_delay_alu instid0(VALU_DEP_2) | instskip(NEXT) | instid1(VALU_DEP_2)
	v_fma_f64 v[27:28], v[37:38], v[17:18], v[27:28]
	v_add_f64 v[13:14], v[13:14], -v[25:26]
	s_delay_alu instid0(VALU_DEP_2)
	v_add_f64 v[15:16], v[15:16], -v[27:28]
	s_cbranch_execnz .LBB14_3
	s_branch .LBB14_19
.LBB14_18:                              ;   in Loop: Header=BB14_4 Depth=1
                                        ; implicit-def: $vgpr15_vgpr16
.LBB14_19:                              ;   in Loop: Header=BB14_4 Depth=1
	s_delay_alu instid0(VALU_DEP_1) | instskip(SKIP_1) | instid1(VALU_DEP_2)
	v_mul_f64 v[13:14], s[10:11], v[19:20]
	v_mul_f64 v[15:16], s[8:9], v[19:20]
	v_fma_f64 v[13:14], s[8:9], v[17:18], -v[13:14]
	s_delay_alu instid0(VALU_DEP_2) | instskip(NEXT) | instid1(VALU_DEP_2)
	v_fma_f64 v[15:16], s[10:11], v[17:18], v[15:16]
	v_add_f64 v[13:14], v[5:6], v[13:14]
	s_delay_alu instid0(VALU_DEP_2)
	v_add_f64 v[15:16], v[7:8], v[15:16]
	s_branch .LBB14_3
.LBB14_20:
	s_or_b32 exec_lo, exec_lo, s24
	s_mov_b32 s2, 0
.LBB14_21:
	s_delay_alu instid0(SALU_CYCLE_1)
	s_and_not1_b32 vcc_lo, exec_lo, s2
	s_cbranch_vccnz .LBB14_57
; %bb.22:
	v_cmp_lt_i64_e64 s2, s[12:13], 1
	s_delay_alu instid0(VALU_DEP_1)
	s_and_b32 vcc_lo, exec_lo, s2
	s_cbranch_vccnz .LBB14_57
; %bb.23:
	s_waitcnt lgkmcnt(0)
	v_mul_f64 v[1:2], s[10:11], s[10:11]
	s_load_b32 s0, s[0:1], 0xc6c
	v_cmp_gt_u64_e64 s1, 0x10000, s[12:13]
	v_lshlrev_b32_e32 v8, 4, v0
	v_add_f64 v[34:35], -s[8:9], 1.0
	v_add_f64 v[36:37], -s[10:11], 0
	s_mov_b32 s15, 0
	s_waitcnt lgkmcnt(0)
	s_and_b32 s22, s0, 0xffff
	s_and_b32 s0, s1, exec_lo
	v_add_lshl_u32 v9, v0, s22, 4
	s_cselect_b32 s17, s13, 0
	s_cselect_b32 s16, s12, 0x10000
	s_lshl_b32 s14, s22, 2
	s_lshl_b32 s23, s22, 1
	v_add_co_u32 v48, s0, s20, v9
	s_delay_alu instid0(VALU_DEP_1) | instskip(SKIP_1) | instid1(VALU_DEP_1)
	v_add_co_ci_u32_e64 v49, null, s21, 0, s0
	v_add_co_u32 v50, s0, s4, v9
	v_add_co_ci_u32_e64 v51, null, s5, 0, s0
	v_add_co_u32 v54, s1, s18, v9
	v_fma_f64 v[2:3], s[8:9], s[8:9], v[1:2]
	v_mov_b32_e32 v1, 0
	v_or_b32_e32 v4, 8, v8
	v_add_co_ci_u32_e64 v55, null, s19, 0, s1
	s_lshl_b32 s1, s22, 5
	s_delay_alu instid0(VALU_DEP_3) | instskip(NEXT) | instid1(VALU_DEP_3)
	v_mov_b32_e32 v5, v1
	v_add_co_u32 v42, s2, s18, v4
	s_delay_alu instid0(VALU_DEP_1) | instskip(NEXT) | instid1(VALU_DEP_3)
	v_add_co_ci_u32_e64 v43, null, s19, 0, s2
	v_mad_u64_u32 v[6:7], null, s22, 48, v[4:5]
	v_add_co_u32 v44, s2, s4, v4
	s_delay_alu instid0(VALU_DEP_1) | instskip(SKIP_1) | instid1(VALU_DEP_4)
	v_add_co_ci_u32_e64 v45, null, s5, 0, s2
	v_add_co_u32 v46, s2, s20, v4
	v_add_co_u32 v52, vcc_lo, s18, v6
	v_add_co_ci_u32_e32 v53, vcc_lo, s19, v7, vcc_lo
	v_add_co_u32 v56, vcc_lo, s4, v6
	v_add_co_ci_u32_e32 v57, vcc_lo, s5, v7, vcc_lo
	;; [unrolled: 2-line block ×3, first 2 shown]
	v_add_co_ci_u32_e64 v47, null, s21, 0, s2
	s_mul_i32 s24, s22, 3
	v_cmp_ngt_f64_e64 s0, 0x3fd00000, v[2:3]
	v_add_co_u32 v2, s1, s1, v8
	s_delay_alu instid0(VALU_DEP_1) | instskip(NEXT) | instid1(VALU_DEP_2)
	v_add_co_ci_u32_e64 v3, null, 0, 0, s1
	v_or_b32_e32 v4, 8, v2
	v_add_co_u32 v60, vcc_lo, s20, v2
	s_delay_alu instid0(VALU_DEP_3) | instskip(NEXT) | instid1(VALU_DEP_3)
	v_add_co_ci_u32_e32 v61, vcc_lo, s21, v3, vcc_lo
	v_add_co_u32 v62, vcc_lo, s18, v4
	v_add_co_ci_u32_e32 v63, vcc_lo, s19, v3, vcc_lo
	v_add_co_u32 v64, vcc_lo, s4, v4
	v_add_co_ci_u32_e32 v65, vcc_lo, s5, v3, vcc_lo
	s_lshl_b32 s5, s22, 6
	s_mov_b64 s[18:19], s[14:15]
	s_branch .LBB14_25
.LBB14_24:                              ;   in Loop: Header=BB14_25 Depth=1
	s_or_b32 exec_lo, exec_lo, s1
	v_add_co_u32 v0, vcc_lo, v0, s14
	v_add_co_ci_u32_e32 v1, vcc_lo, 0, v1, vcc_lo
	v_add_co_u32 v42, vcc_lo, v42, s5
	v_add_co_ci_u32_e32 v43, vcc_lo, 0, v43, vcc_lo
	v_add_co_u32 v44, vcc_lo, v44, s5
	v_add_co_ci_u32_e32 v45, vcc_lo, 0, v45, vcc_lo
	v_add_co_u32 v48, vcc_lo, v48, s5
	v_add_co_ci_u32_e32 v49, vcc_lo, 0, v49, vcc_lo
	v_add_co_u32 v46, vcc_lo, v46, s5
	v_add_co_ci_u32_e32 v47, vcc_lo, 0, v47, vcc_lo
	v_add_co_u32 v50, vcc_lo, v50, s5
	v_add_co_ci_u32_e32 v51, vcc_lo, 0, v51, vcc_lo
	v_add_co_u32 v52, vcc_lo, v52, s5
	v_add_co_ci_u32_e32 v53, vcc_lo, 0, v53, vcc_lo
	v_add_co_u32 v54, vcc_lo, v54, s5
	v_add_co_ci_u32_e32 v55, vcc_lo, 0, v55, vcc_lo
	v_add_co_u32 v56, vcc_lo, v56, s5
	v_add_co_ci_u32_e32 v57, vcc_lo, 0, v57, vcc_lo
	v_add_co_u32 v58, vcc_lo, v58, s5
	v_add_co_ci_u32_e32 v59, vcc_lo, 0, v59, vcc_lo
	v_add_co_u32 v60, vcc_lo, v60, s5
	v_add_co_ci_u32_e32 v61, vcc_lo, 0, v61, vcc_lo
	v_cmp_ge_i64_e64 s1, s[18:19], s[12:13]
	v_cmp_lt_u64_e64 s2, 0xffff, s[18:19]
	v_add_co_u32 v62, vcc_lo, v62, s5
	v_add_co_ci_u32_e32 v63, vcc_lo, 0, v63, vcc_lo
	v_add_co_u32 v64, vcc_lo, v64, s5
	v_add_co_ci_u32_e32 v65, vcc_lo, 0, v65, vcc_lo
	s_or_b32 s1, s1, s2
	s_add_u32 s18, s18, s14
	s_addc_u32 s19, s19, 0
	s_and_b32 vcc_lo, exec_lo, s1
	s_cbranch_vccnz .LBB14_57
.LBB14_25:                              ; =>This Inner Loop Header: Depth=1
	v_mov_b32_e32 v4, 0
	v_mov_b32_e32 v5, 0
	v_cmp_gt_u64_e64 s1, s[16:17], v[0:1]
	s_delay_alu instid0(VALU_DEP_2)
	v_dual_mov_b32 v29, v5 :: v_dual_mov_b32 v28, v4
	v_dual_mov_b32 v27, v5 :: v_dual_mov_b32 v26, v4
	v_dual_mov_b32 v9, v5 :: v_dual_mov_b32 v8, v4
	v_dual_mov_b32 v7, v5 :: v_dual_mov_b32 v6, v4
	s_and_saveexec_b32 s2, s1
	s_cbranch_execz .LBB14_27
; %bb.26:                               ;   in Loop: Header=BB14_25 Depth=1
	v_add_co_u32 v2, vcc_lo, v44, s6
	v_add_co_ci_u32_e32 v3, vcc_lo, s7, v45, vcc_lo
	v_add_co_u32 v10, vcc_lo, v42, s6
	v_add_co_ci_u32_e32 v11, vcc_lo, s7, v43, vcc_lo
	global_load_b128 v[6:9], v[2:3], off offset:-8
	global_load_b128 v[26:29], v[10:11], off offset:-8
.LBB14_27:                              ;   in Loop: Header=BB14_25 Depth=1
	s_or_b32 exec_lo, exec_lo, s2
	v_add_co_u32 v10, vcc_lo, s22, v0
	v_add_co_ci_u32_e32 v11, vcc_lo, 0, v1, vcc_lo
	v_dual_mov_b32 v2, v4 :: v_dual_mov_b32 v3, v5
	v_dual_mov_b32 v13, v5 :: v_dual_mov_b32 v12, v4
	s_delay_alu instid0(VALU_DEP_3) | instskip(SKIP_1) | instid1(VALU_DEP_2)
	v_cmp_gt_u64_e64 s2, s[16:17], v[10:11]
	v_dual_mov_b32 v11, v5 :: v_dual_mov_b32 v10, v4
	s_and_saveexec_b32 s3, s2
	s_cbranch_execz .LBB14_29
; %bb.28:                               ;   in Loop: Header=BB14_25 Depth=1
	v_add_co_u32 v2, vcc_lo, v50, s6
	v_add_co_ci_u32_e32 v3, vcc_lo, s7, v51, vcc_lo
	v_add_co_u32 v4, vcc_lo, v54, s6
	v_add_co_ci_u32_e32 v5, vcc_lo, s7, v55, vcc_lo
	global_load_b128 v[10:13], v[2:3], off
	global_load_b128 v[2:5], v[4:5], off
.LBB14_29:                              ;   in Loop: Header=BB14_25 Depth=1
	s_or_b32 exec_lo, exec_lo, s3
	v_add_co_u32 v14, vcc_lo, s23, v0
	v_add_co_ci_u32_e32 v15, vcc_lo, 0, v1, vcc_lo
	v_mov_b32_e32 v16, 0
	v_mov_b32_e32 v17, 0
	s_delay_alu instid0(VALU_DEP_3) | instskip(NEXT) | instid1(VALU_DEP_2)
	v_cmp_gt_u64_e64 s3, s[16:17], v[14:15]
	v_dual_mov_b32 v33, v17 :: v_dual_mov_b32 v32, v16
	v_dual_mov_b32 v31, v17 :: v_dual_mov_b32 v30, v16
	;; [unrolled: 1-line block ×4, first 2 shown]
	s_and_saveexec_b32 s4, s3
	s_cbranch_execz .LBB14_31
; %bb.30:                               ;   in Loop: Header=BB14_25 Depth=1
	v_add_co_u32 v14, vcc_lo, v64, s6
	v_add_co_ci_u32_e32 v15, vcc_lo, s7, v65, vcc_lo
	v_add_co_u32 v22, vcc_lo, v62, s6
	v_add_co_ci_u32_e32 v23, vcc_lo, s7, v63, vcc_lo
	global_load_b128 v[18:21], v[14:15], off offset:-8
	global_load_b128 v[30:33], v[22:23], off offset:-8
.LBB14_31:                              ;   in Loop: Header=BB14_25 Depth=1
	s_or_b32 exec_lo, exec_lo, s4
	v_add_co_u32 v22, vcc_lo, s24, v0
	v_add_co_ci_u32_e32 v23, vcc_lo, 0, v1, vcc_lo
	v_dual_mov_b32 v14, v16 :: v_dual_mov_b32 v15, v17
	v_dual_mov_b32 v25, v17 :: v_dual_mov_b32 v24, v16
	s_delay_alu instid0(VALU_DEP_3) | instskip(SKIP_1) | instid1(VALU_DEP_2)
	v_cmp_gt_u64_e64 s4, s[16:17], v[22:23]
	v_dual_mov_b32 v23, v17 :: v_dual_mov_b32 v22, v16
	s_and_saveexec_b32 s15, s4
	s_cbranch_execz .LBB14_33
; %bb.32:                               ;   in Loop: Header=BB14_25 Depth=1
	v_add_co_u32 v14, vcc_lo, v56, s6
	v_add_co_ci_u32_e32 v15, vcc_lo, s7, v57, vcc_lo
	v_add_co_u32 v16, vcc_lo, v52, s6
	v_add_co_ci_u32_e32 v17, vcc_lo, s7, v53, vcc_lo
	global_load_b128 v[22:25], v[14:15], off offset:-8
	global_load_b128 v[14:17], v[16:17], off offset:-8
.LBB14_33:                              ;   in Loop: Header=BB14_25 Depth=1
	s_or_b32 exec_lo, exec_lo, s15
	s_waitcnt vmcnt(0)
	v_add_f64 v[38:39], v[26:27], -v[6:7]
	v_add_f64 v[40:41], v[28:29], -v[8:9]
	s_and_b32 vcc_lo, exec_lo, s0
	s_cbranch_vccz .LBB14_49
; %bb.34:                               ;   in Loop: Header=BB14_25 Depth=1
	s_delay_alu instid0(VALU_DEP_1) | instskip(NEXT) | instid1(VALU_DEP_3)
	v_mul_f64 v[66:67], v[36:37], v[40:41]
	v_mul_f64 v[68:69], v[36:37], v[38:39]
	s_delay_alu instid0(VALU_DEP_2) | instskip(NEXT) | instid1(VALU_DEP_2)
	v_fma_f64 v[66:67], v[34:35], v[38:39], -v[66:67]
	v_fma_f64 v[68:69], v[34:35], v[40:41], v[68:69]
	s_delay_alu instid0(VALU_DEP_2) | instskip(NEXT) | instid1(VALU_DEP_2)
	v_add_f64 v[26:27], v[26:27], -v[66:67]
	v_add_f64 v[28:29], v[28:29], -v[68:69]
	s_cbranch_execnz .LBB14_36
.LBB14_35:                              ;   in Loop: Header=BB14_25 Depth=1
	s_delay_alu instid0(VALU_DEP_1) | instskip(NEXT) | instid1(VALU_DEP_3)
	v_mul_f64 v[26:27], s[10:11], v[40:41]
	v_mul_f64 v[28:29], s[10:11], v[38:39]
	s_delay_alu instid0(VALU_DEP_2) | instskip(NEXT) | instid1(VALU_DEP_2)
	v_fma_f64 v[26:27], s[8:9], v[38:39], -v[26:27]
	v_fma_f64 v[28:29], s[8:9], v[40:41], v[28:29]
	s_delay_alu instid0(VALU_DEP_2) | instskip(NEXT) | instid1(VALU_DEP_2)
	v_add_f64 v[26:27], v[6:7], v[26:27]
	v_add_f64 v[28:29], v[8:9], v[28:29]
.LBB14_36:                              ;   in Loop: Header=BB14_25 Depth=1
	v_add_f64 v[6:7], v[2:3], -v[10:11]
	v_add_f64 v[8:9], v[4:5], -v[12:13]
	s_and_not1_b32 vcc_lo, exec_lo, s0
	s_cbranch_vccnz .LBB14_50
; %bb.37:                               ;   in Loop: Header=BB14_25 Depth=1
	s_delay_alu instid0(VALU_DEP_1) | instskip(NEXT) | instid1(VALU_DEP_3)
	v_mul_f64 v[38:39], v[36:37], v[8:9]
	v_mul_f64 v[40:41], v[36:37], v[6:7]
	s_delay_alu instid0(VALU_DEP_2) | instskip(NEXT) | instid1(VALU_DEP_2)
	v_fma_f64 v[38:39], v[34:35], v[6:7], -v[38:39]
	v_fma_f64 v[40:41], v[34:35], v[8:9], v[40:41]
	s_delay_alu instid0(VALU_DEP_2) | instskip(NEXT) | instid1(VALU_DEP_2)
	v_add_f64 v[2:3], v[2:3], -v[38:39]
	v_add_f64 v[4:5], v[4:5], -v[40:41]
	s_cbranch_execnz .LBB14_39
.LBB14_38:                              ;   in Loop: Header=BB14_25 Depth=1
	s_delay_alu instid0(VALU_DEP_1) | instskip(NEXT) | instid1(VALU_DEP_3)
	v_mul_f64 v[2:3], s[10:11], v[8:9]
	v_mul_f64 v[4:5], s[10:11], v[6:7]
	s_delay_alu instid0(VALU_DEP_2) | instskip(NEXT) | instid1(VALU_DEP_2)
	v_fma_f64 v[2:3], s[8:9], v[6:7], -v[2:3]
	v_fma_f64 v[4:5], s[8:9], v[8:9], v[4:5]
	s_delay_alu instid0(VALU_DEP_2) | instskip(NEXT) | instid1(VALU_DEP_2)
	v_add_f64 v[2:3], v[10:11], v[2:3]
	v_add_f64 v[4:5], v[12:13], v[4:5]
.LBB14_39:                              ;   in Loop: Header=BB14_25 Depth=1
	v_add_f64 v[10:11], v[30:31], -v[18:19]
	v_add_f64 v[12:13], v[32:33], -v[20:21]
	s_and_not1_b32 vcc_lo, exec_lo, s0
	s_cbranch_vccnz .LBB14_51
; %bb.40:                               ;   in Loop: Header=BB14_25 Depth=1
	s_delay_alu instid0(VALU_DEP_1) | instskip(NEXT) | instid1(VALU_DEP_3)
	v_mul_f64 v[6:7], v[36:37], v[12:13]
	v_mul_f64 v[8:9], v[36:37], v[10:11]
	s_delay_alu instid0(VALU_DEP_2) | instskip(NEXT) | instid1(VALU_DEP_2)
	v_fma_f64 v[6:7], v[34:35], v[10:11], -v[6:7]
	v_fma_f64 v[8:9], v[34:35], v[12:13], v[8:9]
	s_delay_alu instid0(VALU_DEP_2) | instskip(NEXT) | instid1(VALU_DEP_2)
	v_add_f64 v[6:7], v[30:31], -v[6:7]
	v_add_f64 v[8:9], v[32:33], -v[8:9]
	s_cbranch_execnz .LBB14_42
.LBB14_41:                              ;   in Loop: Header=BB14_25 Depth=1
	s_delay_alu instid0(VALU_DEP_1) | instskip(NEXT) | instid1(VALU_DEP_3)
	v_mul_f64 v[6:7], s[10:11], v[12:13]
	v_mul_f64 v[8:9], s[10:11], v[10:11]
	s_delay_alu instid0(VALU_DEP_2) | instskip(NEXT) | instid1(VALU_DEP_2)
	v_fma_f64 v[6:7], s[8:9], v[10:11], -v[6:7]
	v_fma_f64 v[8:9], s[8:9], v[12:13], v[8:9]
	s_delay_alu instid0(VALU_DEP_2) | instskip(NEXT) | instid1(VALU_DEP_2)
	v_add_f64 v[6:7], v[18:19], v[6:7]
	v_add_f64 v[8:9], v[20:21], v[8:9]
.LBB14_42:                              ;   in Loop: Header=BB14_25 Depth=1
	v_add_f64 v[18:19], v[14:15], -v[22:23]
	v_add_f64 v[20:21], v[16:17], -v[24:25]
	s_and_not1_b32 vcc_lo, exec_lo, s0
	s_cbranch_vccnz .LBB14_52
; %bb.43:                               ;   in Loop: Header=BB14_25 Depth=1
	s_delay_alu instid0(VALU_DEP_1) | instskip(NEXT) | instid1(VALU_DEP_3)
	v_mul_f64 v[10:11], v[36:37], v[20:21]
	v_mul_f64 v[12:13], v[36:37], v[18:19]
	s_delay_alu instid0(VALU_DEP_2) | instskip(NEXT) | instid1(VALU_DEP_2)
	v_fma_f64 v[10:11], v[34:35], v[18:19], -v[10:11]
	v_fma_f64 v[12:13], v[34:35], v[20:21], v[12:13]
	s_delay_alu instid0(VALU_DEP_2) | instskip(NEXT) | instid1(VALU_DEP_2)
	v_add_f64 v[10:11], v[14:15], -v[10:11]
	v_add_f64 v[12:13], v[16:17], -v[12:13]
	s_cbranch_execnz .LBB14_45
.LBB14_44:                              ;   in Loop: Header=BB14_25 Depth=1
	s_delay_alu instid0(VALU_DEP_1) | instskip(NEXT) | instid1(VALU_DEP_3)
	v_mul_f64 v[10:11], s[10:11], v[20:21]
	v_mul_f64 v[12:13], s[10:11], v[18:19]
	s_delay_alu instid0(VALU_DEP_2) | instskip(NEXT) | instid1(VALU_DEP_2)
	v_fma_f64 v[10:11], s[8:9], v[18:19], -v[10:11]
	v_fma_f64 v[12:13], s[8:9], v[20:21], v[12:13]
	s_delay_alu instid0(VALU_DEP_2) | instskip(NEXT) | instid1(VALU_DEP_2)
	v_add_f64 v[10:11], v[22:23], v[10:11]
	v_add_f64 v[12:13], v[24:25], v[12:13]
.LBB14_45:                              ;   in Loop: Header=BB14_25 Depth=1
	s_and_saveexec_b32 s15, s1
	s_delay_alu instid0(SALU_CYCLE_1)
	s_xor_b32 s1, exec_lo, s15
	s_cbranch_execnz .LBB14_53
; %bb.46:                               ;   in Loop: Header=BB14_25 Depth=1
	s_or_b32 exec_lo, exec_lo, s1
	s_and_saveexec_b32 s1, s2
	s_cbranch_execnz .LBB14_54
.LBB14_47:                              ;   in Loop: Header=BB14_25 Depth=1
	s_or_b32 exec_lo, exec_lo, s1
	s_and_saveexec_b32 s1, s3
	s_cbranch_execnz .LBB14_55
.LBB14_48:                              ;   in Loop: Header=BB14_25 Depth=1
	s_or_b32 exec_lo, exec_lo, s1
	s_and_saveexec_b32 s1, s4
	s_cbranch_execz .LBB14_24
	s_branch .LBB14_56
.LBB14_49:                              ;   in Loop: Header=BB14_25 Depth=1
                                        ; implicit-def: $vgpr28_vgpr29
	s_branch .LBB14_35
.LBB14_50:                              ;   in Loop: Header=BB14_25 Depth=1
                                        ; implicit-def: $vgpr4_vgpr5
	s_branch .LBB14_38
.LBB14_51:                              ;   in Loop: Header=BB14_25 Depth=1
                                        ; implicit-def: $vgpr8_vgpr9
	s_branch .LBB14_41
.LBB14_52:                              ;   in Loop: Header=BB14_25 Depth=1
                                        ; implicit-def: $vgpr12_vgpr13
	s_branch .LBB14_44
.LBB14_53:                              ;   in Loop: Header=BB14_25 Depth=1
	v_add_co_u32 v14, vcc_lo, v46, s6
	v_add_co_ci_u32_e32 v15, vcc_lo, s7, v47, vcc_lo
	global_store_b128 v[14:15], v[26:29], off offset:-8
	s_or_b32 exec_lo, exec_lo, s1
	s_and_saveexec_b32 s1, s2
	s_cbranch_execz .LBB14_47
.LBB14_54:                              ;   in Loop: Header=BB14_25 Depth=1
	v_add_co_u32 v14, vcc_lo, v48, s6
	v_add_co_ci_u32_e32 v15, vcc_lo, s7, v49, vcc_lo
	global_store_b128 v[14:15], v[2:5], off
	s_or_b32 exec_lo, exec_lo, s1
	s_and_saveexec_b32 s1, s3
	s_cbranch_execz .LBB14_48
.LBB14_55:                              ;   in Loop: Header=BB14_25 Depth=1
	v_add_co_u32 v2, vcc_lo, v60, s6
	v_add_co_ci_u32_e32 v3, vcc_lo, s7, v61, vcc_lo
	global_store_b128 v[2:3], v[6:9], off
	s_or_b32 exec_lo, exec_lo, s1
	s_and_saveexec_b32 s1, s4
	s_cbranch_execz .LBB14_24
.LBB14_56:                              ;   in Loop: Header=BB14_25 Depth=1
	v_add_co_u32 v2, vcc_lo, v58, s6
	v_add_co_ci_u32_e32 v3, vcc_lo, s7, v59, vcc_lo
	global_store_b128 v[2:3], v[10:13], off offset:-8
	s_branch .LBB14_24
.LBB14_57:
	s_nop 0
	s_sendmsg sendmsg(MSG_DEALLOC_VGPRS)
	s_endpgm
	.section	.rodata,"a",@progbits
	.p2align	6, 0x0
	.amdhsa_kernel _ZN2at6native12_GLOBAL__N_125multi_tensor_apply_kernelINS1_18TensorListMetadataILi3EEENS1_22TernaryOpScalarFunctorIN3c107complexIdEELi3ELi2ELi2EEEJNS0_11LerpFunctorIS8_EES8_EEEvT_T0_DpT1_
		.amdhsa_group_segment_fixed_size 0
		.amdhsa_private_segment_fixed_size 0
		.amdhsa_kernarg_size 3424
		.amdhsa_user_sgpr_count 15
		.amdhsa_user_sgpr_dispatch_ptr 0
		.amdhsa_user_sgpr_queue_ptr 0
		.amdhsa_user_sgpr_kernarg_segment_ptr 1
		.amdhsa_user_sgpr_dispatch_id 0
		.amdhsa_user_sgpr_private_segment_size 0
		.amdhsa_wavefront_size32 1
		.amdhsa_uses_dynamic_stack 0
		.amdhsa_enable_private_segment 0
		.amdhsa_system_sgpr_workgroup_id_x 1
		.amdhsa_system_sgpr_workgroup_id_y 0
		.amdhsa_system_sgpr_workgroup_id_z 0
		.amdhsa_system_sgpr_workgroup_info 0
		.amdhsa_system_vgpr_workitem_id 0
		.amdhsa_next_free_vgpr 70
		.amdhsa_next_free_sgpr 29
		.amdhsa_reserve_vcc 1
		.amdhsa_float_round_mode_32 0
		.amdhsa_float_round_mode_16_64 0
		.amdhsa_float_denorm_mode_32 3
		.amdhsa_float_denorm_mode_16_64 3
		.amdhsa_dx10_clamp 1
		.amdhsa_ieee_mode 1
		.amdhsa_fp16_overflow 0
		.amdhsa_workgroup_processor_mode 1
		.amdhsa_memory_ordered 1
		.amdhsa_forward_progress 0
		.amdhsa_shared_vgpr_count 0
		.amdhsa_exception_fp_ieee_invalid_op 0
		.amdhsa_exception_fp_denorm_src 0
		.amdhsa_exception_fp_ieee_div_zero 0
		.amdhsa_exception_fp_ieee_overflow 0
		.amdhsa_exception_fp_ieee_underflow 0
		.amdhsa_exception_fp_ieee_inexact 0
		.amdhsa_exception_int_div_zero 0
	.end_amdhsa_kernel
	.section	.text._ZN2at6native12_GLOBAL__N_125multi_tensor_apply_kernelINS1_18TensorListMetadataILi3EEENS1_22TernaryOpScalarFunctorIN3c107complexIdEELi3ELi2ELi2EEEJNS0_11LerpFunctorIS8_EES8_EEEvT_T0_DpT1_,"axG",@progbits,_ZN2at6native12_GLOBAL__N_125multi_tensor_apply_kernelINS1_18TensorListMetadataILi3EEENS1_22TernaryOpScalarFunctorIN3c107complexIdEELi3ELi2ELi2EEEJNS0_11LerpFunctorIS8_EES8_EEEvT_T0_DpT1_,comdat
.Lfunc_end14:
	.size	_ZN2at6native12_GLOBAL__N_125multi_tensor_apply_kernelINS1_18TensorListMetadataILi3EEENS1_22TernaryOpScalarFunctorIN3c107complexIdEELi3ELi2ELi2EEEJNS0_11LerpFunctorIS8_EES8_EEEvT_T0_DpT1_, .Lfunc_end14-_ZN2at6native12_GLOBAL__N_125multi_tensor_apply_kernelINS1_18TensorListMetadataILi3EEENS1_22TernaryOpScalarFunctorIN3c107complexIdEELi3ELi2ELi2EEEJNS0_11LerpFunctorIS8_EES8_EEEvT_T0_DpT1_
                                        ; -- End function
	.section	.AMDGPU.csdata,"",@progbits
; Kernel info:
; codeLenInByte = 3048
; NumSgprs: 31
; NumVgprs: 70
; ScratchSize: 0
; MemoryBound: 1
; FloatMode: 240
; IeeeMode: 1
; LDSByteSize: 0 bytes/workgroup (compile time only)
; SGPRBlocks: 3
; VGPRBlocks: 8
; NumSGPRsForWavesPerEU: 31
; NumVGPRsForWavesPerEU: 70
; Occupancy: 16
; WaveLimiterHint : 0
; COMPUTE_PGM_RSRC2:SCRATCH_EN: 0
; COMPUTE_PGM_RSRC2:USER_SGPR: 15
; COMPUTE_PGM_RSRC2:TRAP_HANDLER: 0
; COMPUTE_PGM_RSRC2:TGID_X_EN: 1
; COMPUTE_PGM_RSRC2:TGID_Y_EN: 0
; COMPUTE_PGM_RSRC2:TGID_Z_EN: 0
; COMPUTE_PGM_RSRC2:TIDIG_COMP_CNT: 0
	.section	.text._ZN2at6native12_GLOBAL__N_125multi_tensor_apply_kernelINS1_18TensorListMetadataILi3EEENS1_22TernaryOpScalarFunctorIN3c107complexIfEELi3ELi2ELi2EEEJNS0_11LerpFunctorIS8_EES8_EEEvT_T0_DpT1_,"axG",@progbits,_ZN2at6native12_GLOBAL__N_125multi_tensor_apply_kernelINS1_18TensorListMetadataILi3EEENS1_22TernaryOpScalarFunctorIN3c107complexIfEELi3ELi2ELi2EEEJNS0_11LerpFunctorIS8_EES8_EEEvT_T0_DpT1_,comdat
	.globl	_ZN2at6native12_GLOBAL__N_125multi_tensor_apply_kernelINS1_18TensorListMetadataILi3EEENS1_22TernaryOpScalarFunctorIN3c107complexIfEELi3ELi2ELi2EEEJNS0_11LerpFunctorIS8_EES8_EEEvT_T0_DpT1_ ; -- Begin function _ZN2at6native12_GLOBAL__N_125multi_tensor_apply_kernelINS1_18TensorListMetadataILi3EEENS1_22TernaryOpScalarFunctorIN3c107complexIfEELi3ELi2ELi2EEEJNS0_11LerpFunctorIS8_EES8_EEEvT_T0_DpT1_
	.p2align	8
	.type	_ZN2at6native12_GLOBAL__N_125multi_tensor_apply_kernelINS1_18TensorListMetadataILi3EEENS1_22TernaryOpScalarFunctorIN3c107complexIfEELi3ELi2ELi2EEEJNS0_11LerpFunctorIS8_EES8_EEEvT_T0_DpT1_,@function
_ZN2at6native12_GLOBAL__N_125multi_tensor_apply_kernelINS1_18TensorListMetadataILi3EEENS1_22TernaryOpScalarFunctorIN3c107complexIfEELi3ELi2ELi2EEEJNS0_11LerpFunctorIS8_EES8_EEEvT_T0_DpT1_: ; @_ZN2at6native12_GLOBAL__N_125multi_tensor_apply_kernelINS1_18TensorListMetadataILi3EEENS1_22TernaryOpScalarFunctorIN3c107complexIfEELi3ELi2ELi2EEEJNS0_11LerpFunctorIS8_EES8_EEEvT_T0_DpT1_
; %bb.0:
	v_mov_b32_e32 v1, s15
	s_add_u32 s2, s0, s15
	s_mul_hi_u32 s3, s15, 3
	s_mul_i32 s15, s15, 3
	s_addc_u32 s4, s1, 0
	global_load_u8 v1, v1, s[0:1] offset:1536
	s_add_u32 s2, s2, s15
	s_addc_u32 s3, s4, s3
	s_mov_b32 s23, 0
	s_load_b32 s2, s[2:3], 0x740
	s_mov_b32 s25, s23
	s_waitcnt vmcnt(0)
	v_readfirstlane_b32 s3, v1
	s_delay_alu instid0(VALU_DEP_1)
	s_lshl_b32 s3, s3, 3
	s_clause 0x3
	s_load_b64 s[4:5], s[0:1], s3 offset:0x0
	s_load_b64 s[16:17], s[0:1], s3 offset:0x180
	;; [unrolled: 1-line block ×4, first 2 shown]
	s_waitcnt lgkmcnt(0)
	s_ashr_i32 s3, s2, 31
	s_delay_alu instid0(SALU_CYCLE_1) | instskip(NEXT) | instid1(SALU_CYCLE_1)
	s_lshl_b64 s[6:7], s[2:3], 19
	s_add_u32 s12, s4, s6
	s_addc_u32 s13, s5, s7
	s_add_u32 s14, s16, s6
	s_addc_u32 s15, s17, s7
	;; [unrolled: 2-line block ×3, first 2 shown]
	s_or_b32 s8, s20, s14
	s_lshl_b64 s[2:3], s[2:3], 16
	s_and_b32 s8, s8, 31
	s_and_b32 s22, s12, 31
	s_cmp_lg_u32 s8, 0
	s_cselect_b32 s26, -1, 0
	s_sub_u32 s8, s10, s2
	s_subb_u32 s9, s11, s3
	s_and_b32 s24, s10, 3
	s_load_b64 s[10:11], s[0:1], 0xc50
	s_or_b64 s[2:3], s[22:23], s[24:25]
	s_delay_alu instid0(SALU_CYCLE_1) | instskip(SKIP_1) | instid1(SALU_CYCLE_1)
	s_cmp_lg_u64 s[2:3], 0
	s_cselect_b32 s2, -1, 0
	s_or_b32 s2, s26, s2
	s_delay_alu instid0(SALU_CYCLE_1)
	s_and_not1_b32 vcc_lo, exec_lo, s2
	s_mov_b32 s2, -1
	s_cbranch_vccz .LBB15_21
; %bb.1:
	v_dual_mov_b32 v18, 0 :: v_dual_lshlrev_b32 v17, 2, v0
	s_mov_b32 s22, exec_lo
	s_delay_alu instid0(VALU_DEP_1)
	v_cmpx_gt_i64_e64 s[8:9], v[17:18]
	s_cbranch_execz .LBB15_20
; %bb.2:
	s_load_b32 s2, s[0:1], 0xc64
	s_waitcnt lgkmcnt(0)
	v_mul_f32_e64 v1, s11, s11
	v_sub_f32_e64 v19, 1.0, s10
	v_sub_f32_e64 v20, 0, s11
	v_lshlrev_b32_e32 v21, 5, v0
	s_delay_alu instid0(VALU_DEP_4) | instskip(SKIP_1) | instid1(VALU_DEP_1)
	v_fmac_f32_e64 v1, s10, s10
	s_and_b32 s3, s2, 0xffff
	v_cmp_ngt_f32_e64 s2, 0x3e800000, v1
	v_add_lshl_u32 v17, v0, s3, 2
	s_lshl_b32 s24, s3, 2
	s_lshl_b32 s25, s3, 5
	s_branch .LBB15_4
.LBB15_3:                               ;   in Loop: Header=BB15_4 Depth=1
	v_cmp_le_i64_e32 vcc_lo, s[8:9], v[17:18]
	v_cmp_lt_u64_e64 s3, 0xffff, v[17:18]
	v_add_co_u32 v5, s26, s20, v21
	s_delay_alu instid0(VALU_DEP_1)
	v_add_co_ci_u32_e64 v6, null, s21, 0, s26
	s_clause 0x1
	global_store_b128 v[5:6], v[1:4], off
	global_store_b128 v[5:6], v[9:12], off offset:16
	s_or_b32 s3, vcc_lo, s3
	s_add_u32 s12, s12, s25
	s_addc_u32 s13, s13, 0
	s_add_u32 s20, s20, s25
	v_add_co_u32 v17, vcc_lo, v17, s24
	s_addc_u32 s21, s21, 0
	s_add_u32 s14, s14, s25
	v_add_co_ci_u32_e32 v18, vcc_lo, 0, v18, vcc_lo
	s_addc_u32 s15, s15, 0
	s_and_b32 s3, exec_lo, s3
	s_delay_alu instid0(SALU_CYCLE_1) | instskip(NEXT) | instid1(SALU_CYCLE_1)
	s_or_b32 s23, s3, s23
	s_and_not1_b32 exec_lo, exec_lo, s23
	s_cbranch_execz .LBB15_20
.LBB15_4:                               ; =>This Inner Loop Header: Depth=1
	v_add_co_u32 v5, s3, s12, v21
	s_delay_alu instid0(VALU_DEP_1) | instskip(SKIP_1) | instid1(VALU_DEP_1)
	v_add_co_ci_u32_e64 v6, null, s13, 0, s3
	v_add_co_u32 v9, s3, s14, v21
	v_add_co_ci_u32_e64 v10, null, s15, 0, s3
	global_load_b128 v[13:16], v[5:6], off
	global_load_b128 v[1:4], v[9:10], off
	global_load_b128 v[5:8], v[5:6], off offset:16
	global_load_b128 v[9:12], v[9:10], off offset:16
	s_and_b32 vcc_lo, exec_lo, s2
	s_waitcnt vmcnt(2)
	v_dual_sub_f32 v22, v1, v13 :: v_dual_sub_f32 v23, v2, v14
	s_cbranch_vccz .LBB15_6
; %bb.5:                                ;   in Loop: Header=BB15_4 Depth=1
	s_delay_alu instid0(VALU_DEP_1) | instskip(SKIP_1) | instid1(VALU_DEP_2)
	v_mul_f32_e32 v24, v20, v23
	v_mul_f32_e32 v25, v19, v23
	v_fma_f32 v24, v19, v22, -v24
	s_delay_alu instid0(VALU_DEP_2) | instskip(NEXT) | instid1(VALU_DEP_1)
	v_fmac_f32_e32 v25, v20, v22
	v_dual_sub_f32 v1, v1, v24 :: v_dual_sub_f32 v2, v2, v25
	s_cbranch_execz .LBB15_7
	s_branch .LBB15_8
.LBB15_6:                               ;   in Loop: Header=BB15_4 Depth=1
                                        ; implicit-def: $vgpr2
.LBB15_7:                               ;   in Loop: Header=BB15_4 Depth=1
	s_delay_alu instid0(VALU_DEP_1) | instskip(NEXT) | instid1(VALU_DEP_1)
	v_mul_f32_e32 v2, s10, v23
	v_dual_mul_f32 v1, s11, v23 :: v_dual_fmac_f32 v2, s11, v22
	s_delay_alu instid0(VALU_DEP_1) | instskip(NEXT) | instid1(VALU_DEP_1)
	v_fma_f32 v1, v22, s10, -v1
	v_dual_add_f32 v2, v14, v2 :: v_dual_add_f32 v1, v13, v1
.LBB15_8:                               ;   in Loop: Header=BB15_4 Depth=1
	v_dual_sub_f32 v13, v3, v15 :: v_dual_sub_f32 v14, v4, v16
	s_and_not1_b32 vcc_lo, exec_lo, s2
	s_cbranch_vccnz .LBB15_10
; %bb.9:                                ;   in Loop: Header=BB15_4 Depth=1
	s_delay_alu instid0(VALU_DEP_1) | instskip(SKIP_1) | instid1(VALU_DEP_2)
	v_mul_f32_e32 v22, v20, v14
	v_mul_f32_e32 v23, v19, v14
	v_fma_f32 v22, v19, v13, -v22
	s_delay_alu instid0(VALU_DEP_2) | instskip(NEXT) | instid1(VALU_DEP_1)
	v_fmac_f32_e32 v23, v20, v13
	v_dual_sub_f32 v3, v3, v22 :: v_dual_sub_f32 v4, v4, v23
	s_cbranch_execz .LBB15_11
	s_branch .LBB15_12
.LBB15_10:                              ;   in Loop: Header=BB15_4 Depth=1
.LBB15_11:                              ;   in Loop: Header=BB15_4 Depth=1
	s_delay_alu instid0(VALU_DEP_1) | instskip(NEXT) | instid1(VALU_DEP_1)
	v_mul_f32_e32 v4, s10, v14
	v_dual_mul_f32 v3, s11, v14 :: v_dual_fmac_f32 v4, s11, v13
	s_delay_alu instid0(VALU_DEP_1) | instskip(NEXT) | instid1(VALU_DEP_1)
	v_fma_f32 v3, v13, s10, -v3
	v_dual_add_f32 v4, v16, v4 :: v_dual_add_f32 v3, v15, v3
.LBB15_12:                              ;   in Loop: Header=BB15_4 Depth=1
	s_waitcnt vmcnt(0)
	v_dual_sub_f32 v13, v9, v5 :: v_dual_sub_f32 v14, v10, v6
	s_and_not1_b32 vcc_lo, exec_lo, s2
	s_cbranch_vccnz .LBB15_14
; %bb.13:                               ;   in Loop: Header=BB15_4 Depth=1
	s_delay_alu instid0(VALU_DEP_1) | instskip(NEXT) | instid1(VALU_DEP_1)
	v_mul_f32_e32 v16, v19, v14
	v_fmac_f32_e32 v16, v20, v13
	s_delay_alu instid0(VALU_DEP_1) | instskip(NEXT) | instid1(VALU_DEP_1)
	v_dual_mul_f32 v15, v20, v14 :: v_dual_sub_f32 v10, v10, v16
	v_fma_f32 v15, v19, v13, -v15
	s_delay_alu instid0(VALU_DEP_1)
	v_sub_f32_e32 v9, v9, v15
	s_cbranch_execz .LBB15_15
	s_branch .LBB15_16
.LBB15_14:                              ;   in Loop: Header=BB15_4 Depth=1
                                        ; implicit-def: $vgpr10
.LBB15_15:                              ;   in Loop: Header=BB15_4 Depth=1
	s_delay_alu instid0(VALU_DEP_1) | instskip(NEXT) | instid1(VALU_DEP_1)
	v_mul_f32_e32 v10, s10, v14
	v_dual_mul_f32 v9, s11, v14 :: v_dual_fmac_f32 v10, s11, v13
	s_delay_alu instid0(VALU_DEP_1) | instskip(NEXT) | instid1(VALU_DEP_1)
	v_fma_f32 v9, v13, s10, -v9
	v_dual_add_f32 v10, v6, v10 :: v_dual_add_f32 v9, v5, v9
.LBB15_16:                              ;   in Loop: Header=BB15_4 Depth=1
	v_dual_sub_f32 v5, v11, v7 :: v_dual_sub_f32 v6, v12, v8
	s_and_not1_b32 vcc_lo, exec_lo, s2
	s_cbranch_vccnz .LBB15_18
; %bb.17:                               ;   in Loop: Header=BB15_4 Depth=1
	s_delay_alu instid0(VALU_DEP_1) | instskip(SKIP_1) | instid1(VALU_DEP_2)
	v_mul_f32_e32 v13, v20, v6
	v_mul_f32_e32 v14, v19, v6
	v_fma_f32 v13, v19, v5, -v13
	s_delay_alu instid0(VALU_DEP_2) | instskip(NEXT) | instid1(VALU_DEP_1)
	v_fmac_f32_e32 v14, v20, v5
	v_dual_sub_f32 v11, v11, v13 :: v_dual_sub_f32 v12, v12, v14
	s_cbranch_execnz .LBB15_3
	s_branch .LBB15_19
.LBB15_18:                              ;   in Loop: Header=BB15_4 Depth=1
.LBB15_19:                              ;   in Loop: Header=BB15_4 Depth=1
	s_delay_alu instid0(VALU_DEP_1) | instskip(SKIP_1) | instid1(VALU_DEP_1)
	v_mul_f32_e32 v11, s11, v6
	v_mul_f32_e32 v6, s10, v6
	v_fmac_f32_e32 v6, s11, v5
	s_delay_alu instid0(VALU_DEP_3) | instskip(NEXT) | instid1(VALU_DEP_1)
	v_fma_f32 v11, v5, s10, -v11
	v_dual_add_f32 v12, v8, v6 :: v_dual_add_f32 v11, v7, v11
	s_branch .LBB15_3
.LBB15_20:
	s_or_b32 exec_lo, exec_lo, s22
	s_mov_b32 s2, 0
.LBB15_21:
	s_delay_alu instid0(SALU_CYCLE_1)
	s_and_not1_b32 vcc_lo, exec_lo, s2
	s_cbranch_vccnz .LBB15_57
; %bb.22:
	v_cmp_lt_i64_e64 s2, s[8:9], 1
	s_delay_alu instid0(VALU_DEP_1)
	s_and_b32 vcc_lo, exec_lo, s2
	s_cbranch_vccnz .LBB15_57
; %bb.23:
	s_load_b32 s1, s[0:1], 0xc64
	v_dual_mov_b32 v1, 0 :: v_dual_lshlrev_b32 v6, 3, v0
	s_waitcnt lgkmcnt(0)
	v_mul_f32_e64 v4, s11, s11
	v_cmp_gt_u64_e64 s2, 0x10000, s[8:9]
	v_sub_f32_e64 v18, 1.0, s10
	v_or_b32_e32 v2, 4, v6
	v_mov_b32_e32 v3, v1
	v_fmac_f32_e64 v4, s10, s10
	v_sub_f32_e64 v19, 0, s11
	s_mov_b32 s13, 0
	v_add_co_u32 v20, s3, s16, v2
	s_delay_alu instid0(VALU_DEP_3)
	v_cmp_ngt_f32_e64 s0, 0x3e800000, v4
	v_add_co_ci_u32_e64 v21, null, s17, 0, s3
	s_and_b32 s20, s1, 0xffff
	s_and_b32 s1, s2, exec_lo
	v_add_lshl_u32 v7, v0, s20, 3
	v_add_co_u32 v22, s1, s4, v2
	s_delay_alu instid0(VALU_DEP_1) | instskip(NEXT) | instid1(VALU_DEP_3)
	v_add_co_ci_u32_e64 v23, null, s5, 0, s1
	v_add_co_u32 v24, s1, s18, v7
	v_mad_u64_u32 v[4:5], null, s20, 24, v[2:3]
	v_add_co_ci_u32_e64 v25, null, s19, 0, s1
	v_add_co_u32 v26, s1, s18, v2
	s_delay_alu instid0(VALU_DEP_1) | instskip(SKIP_1) | instid1(VALU_DEP_1)
	v_add_co_ci_u32_e64 v27, null, s19, 0, s1
	v_add_co_u32 v28, s1, s4, v7
	v_add_co_ci_u32_e64 v29, null, s5, 0, s1
	v_add_co_u32 v32, s1, s16, v7
	s_cselect_b32 s15, s9, 0
	s_cselect_b32 s14, s8, 0x10000
	v_add_co_u32 v30, vcc_lo, s16, v4
	v_add_co_ci_u32_e64 v33, null, s17, 0, s1
	s_lshl_b32 s1, s20, 4
	v_add_co_ci_u32_e32 v31, vcc_lo, s17, v5, vcc_lo
	v_add_co_u32 v2, s1, s1, v6
	v_add_co_u32 v34, vcc_lo, s4, v4
	v_add_co_ci_u32_e32 v35, vcc_lo, s5, v5, vcc_lo
	v_add_co_u32 v36, vcc_lo, s18, v4
	v_add_co_ci_u32_e64 v3, null, 0, 0, s1
	v_or_b32_e32 v4, 4, v2
	v_add_co_ci_u32_e32 v37, vcc_lo, s19, v5, vcc_lo
	v_add_co_u32 v38, vcc_lo, s18, v2
	s_delay_alu instid0(VALU_DEP_4) | instskip(NEXT) | instid1(VALU_DEP_4)
	v_add_co_ci_u32_e32 v39, vcc_lo, s19, v3, vcc_lo
	v_add_co_u32 v40, vcc_lo, s16, v4
	v_add_co_ci_u32_e32 v41, vcc_lo, s17, v3, vcc_lo
	v_add_co_u32 v42, vcc_lo, s4, v4
	v_add_co_ci_u32_e32 v43, vcc_lo, s5, v3, vcc_lo
	s_lshl_b32 s12, s20, 2
	s_lshl_b32 s21, s20, 1
	s_mul_i32 s22, s20, 3
	s_lshl_b32 s5, s20, 5
	s_mov_b64 s[16:17], s[12:13]
	s_branch .LBB15_25
.LBB15_24:                              ;   in Loop: Header=BB15_25 Depth=1
	s_or_b32 exec_lo, exec_lo, s1
	v_add_co_u32 v0, vcc_lo, v0, s12
	v_add_co_ci_u32_e32 v1, vcc_lo, 0, v1, vcc_lo
	v_add_co_u32 v20, vcc_lo, v20, s5
	v_add_co_ci_u32_e32 v21, vcc_lo, 0, v21, vcc_lo
	;; [unrolled: 2-line block ×11, first 2 shown]
	v_cmp_ge_i64_e64 s1, s[16:17], s[8:9]
	v_cmp_lt_u64_e64 s2, 0xffff, s[16:17]
	v_add_co_u32 v40, vcc_lo, v40, s5
	v_add_co_ci_u32_e32 v41, vcc_lo, 0, v41, vcc_lo
	v_add_co_u32 v42, vcc_lo, v42, s5
	v_add_co_ci_u32_e32 v43, vcc_lo, 0, v43, vcc_lo
	s_or_b32 s1, s1, s2
	s_add_u32 s16, s16, s12
	s_addc_u32 s17, s17, 0
	s_and_b32 vcc_lo, exec_lo, s1
	s_cbranch_vccnz .LBB15_57
.LBB15_25:                              ; =>This Inner Loop Header: Depth=1
	v_cmp_gt_u64_e64 s1, s[14:15], v[0:1]
	v_dual_mov_b32 v11, 0 :: v_dual_mov_b32 v10, 0
	v_dual_mov_b32 v13, 0 :: v_dual_mov_b32 v12, 0
	s_delay_alu instid0(VALU_DEP_3)
	s_and_saveexec_b32 s2, s1
	s_cbranch_execz .LBB15_27
; %bb.26:                               ;   in Loop: Header=BB15_25 Depth=1
	v_add_co_u32 v2, vcc_lo, v22, s6
	v_add_co_ci_u32_e32 v3, vcc_lo, s7, v23, vcc_lo
	v_add_co_u32 v4, vcc_lo, v20, s6
	v_add_co_ci_u32_e32 v5, vcc_lo, s7, v21, vcc_lo
	global_load_b64 v[12:13], v[2:3], off offset:-4
	global_load_b64 v[10:11], v[4:5], off offset:-4
.LBB15_27:                              ;   in Loop: Header=BB15_25 Depth=1
	s_or_b32 exec_lo, exec_lo, s2
	v_add_co_u32 v4, vcc_lo, s20, v0
	v_add_co_ci_u32_e32 v5, vcc_lo, 0, v1, vcc_lo
	v_dual_mov_b32 v3, 0 :: v_dual_mov_b32 v16, 0
	v_dual_mov_b32 v17, 0 :: v_dual_mov_b32 v8, 0
	s_delay_alu instid0(VALU_DEP_3) | instskip(SKIP_1) | instid1(VALU_DEP_2)
	v_cmp_gt_u64_e64 s2, s[14:15], v[4:5]
	v_mov_b32_e32 v9, 0
	s_and_saveexec_b32 s3, s2
	s_cbranch_execz .LBB15_29
; %bb.28:                               ;   in Loop: Header=BB15_25 Depth=1
	v_add_co_u32 v4, vcc_lo, v28, s6
	v_add_co_ci_u32_e32 v5, vcc_lo, s7, v29, vcc_lo
	v_add_co_u32 v6, vcc_lo, v32, s6
	v_add_co_ci_u32_e32 v7, vcc_lo, s7, v33, vcc_lo
	global_load_b64 v[8:9], v[4:5], off
	global_load_b64 v[16:17], v[6:7], off
.LBB15_29:                              ;   in Loop: Header=BB15_25 Depth=1
	s_or_b32 exec_lo, exec_lo, s3
	v_add_co_u32 v4, vcc_lo, s21, v0
	v_add_co_ci_u32_e32 v5, vcc_lo, 0, v1, vcc_lo
	v_dual_mov_b32 v2, 0 :: v_dual_mov_b32 v7, 0
	v_mov_b32_e32 v6, 0
	s_delay_alu instid0(VALU_DEP_3) | instskip(NEXT) | instid1(VALU_DEP_1)
	v_cmp_gt_u64_e64 s3, s[14:15], v[4:5]
	s_and_saveexec_b32 s4, s3
	s_cbranch_execz .LBB15_31
; %bb.30:                               ;   in Loop: Header=BB15_25 Depth=1
	v_add_co_u32 v2, vcc_lo, v42, s6
	v_add_co_ci_u32_e32 v3, vcc_lo, s7, v43, vcc_lo
	v_add_co_u32 v4, vcc_lo, v40, s6
	v_add_co_ci_u32_e32 v5, vcc_lo, s7, v41, vcc_lo
	global_load_b64 v[6:7], v[2:3], off offset:-4
	global_load_b64 v[2:3], v[4:5], off offset:-4
.LBB15_31:                              ;   in Loop: Header=BB15_25 Depth=1
	s_or_b32 exec_lo, exec_lo, s4
	v_add_co_u32 v4, vcc_lo, s22, v0
	v_add_co_ci_u32_e32 v5, vcc_lo, 0, v1, vcc_lo
	v_dual_mov_b32 v15, 0 :: v_dual_mov_b32 v14, 0
	s_delay_alu instid0(VALU_DEP_2) | instskip(SKIP_1) | instid1(VALU_DEP_2)
	v_cmp_gt_u64_e64 s4, s[14:15], v[4:5]
	v_dual_mov_b32 v5, 0 :: v_dual_mov_b32 v4, 0
	s_and_saveexec_b32 s13, s4
	s_cbranch_execz .LBB15_33
; %bb.32:                               ;   in Loop: Header=BB15_25 Depth=1
	v_add_co_u32 v4, vcc_lo, v34, s6
	v_add_co_ci_u32_e32 v5, vcc_lo, s7, v35, vcc_lo
	v_add_co_u32 v14, vcc_lo, v30, s6
	v_add_co_ci_u32_e32 v15, vcc_lo, s7, v31, vcc_lo
	global_load_b64 v[4:5], v[4:5], off offset:-4
	global_load_b64 v[14:15], v[14:15], off offset:-4
.LBB15_33:                              ;   in Loop: Header=BB15_25 Depth=1
	s_or_b32 exec_lo, exec_lo, s13
	s_waitcnt vmcnt(0)
	v_dual_sub_f32 v45, v10, v12 :: v_dual_sub_f32 v44, v11, v13
	s_and_b32 vcc_lo, exec_lo, s0
	s_cbranch_vccz .LBB15_49
; %bb.34:                               ;   in Loop: Header=BB15_25 Depth=1
	s_delay_alu instid0(VALU_DEP_1) | instskip(NEXT) | instid1(VALU_DEP_1)
	v_mul_f32_e32 v46, v19, v44
	v_fma_f32 v46, v18, v45, -v46
	s_delay_alu instid0(VALU_DEP_1) | instskip(NEXT) | instid1(VALU_DEP_1)
	v_dual_mul_f32 v47, v19, v45 :: v_dual_sub_f32 v10, v10, v46
	v_fmac_f32_e32 v47, v18, v44
	s_delay_alu instid0(VALU_DEP_1)
	v_sub_f32_e32 v11, v11, v47
	s_cbranch_execnz .LBB15_36
.LBB15_35:                              ;   in Loop: Header=BB15_25 Depth=1
	s_delay_alu instid0(VALU_DEP_1) | instskip(NEXT) | instid1(VALU_DEP_1)
	v_dual_mul_f32 v10, s11, v44 :: v_dual_mul_f32 v11, s11, v45
	v_fma_f32 v10, v45, s10, -v10
	s_delay_alu instid0(VALU_DEP_1) | instskip(NEXT) | instid1(VALU_DEP_1)
	v_dual_fmac_f32 v11, s10, v44 :: v_dual_add_f32 v10, v12, v10
	v_add_f32_e32 v11, v13, v11
.LBB15_36:                              ;   in Loop: Header=BB15_25 Depth=1
	v_dual_sub_f32 v45, v16, v8 :: v_dual_sub_f32 v44, v17, v9
	s_and_not1_b32 vcc_lo, exec_lo, s0
	s_cbranch_vccnz .LBB15_50
; %bb.37:                               ;   in Loop: Header=BB15_25 Depth=1
	s_delay_alu instid0(VALU_DEP_1) | instskip(NEXT) | instid1(VALU_DEP_1)
	v_mul_f32_e32 v13, v19, v45
	v_fmac_f32_e32 v13, v18, v44
	s_delay_alu instid0(VALU_DEP_1) | instskip(NEXT) | instid1(VALU_DEP_1)
	v_dual_mul_f32 v12, v19, v44 :: v_dual_sub_f32 v13, v17, v13
	v_fma_f32 v12, v18, v45, -v12
	s_delay_alu instid0(VALU_DEP_1)
	v_sub_f32_e32 v12, v16, v12
	s_cbranch_execnz .LBB15_39
.LBB15_38:                              ;   in Loop: Header=BB15_25 Depth=1
	s_delay_alu instid0(VALU_DEP_1) | instskip(NEXT) | instid1(VALU_DEP_1)
	v_dual_mul_f32 v12, s11, v44 :: v_dual_mul_f32 v13, s11, v45
	v_fma_f32 v12, v45, s10, -v12
	s_delay_alu instid0(VALU_DEP_2) | instskip(NEXT) | instid1(VALU_DEP_1)
	v_fmac_f32_e32 v13, s10, v44
	v_dual_add_f32 v12, v8, v12 :: v_dual_add_f32 v13, v9, v13
.LBB15_39:                              ;   in Loop: Header=BB15_25 Depth=1
	v_dual_sub_f32 v9, v2, v6 :: v_dual_sub_f32 v8, v3, v7
	s_and_not1_b32 vcc_lo, exec_lo, s0
	s_cbranch_vccnz .LBB15_51
; %bb.40:                               ;   in Loop: Header=BB15_25 Depth=1
	s_delay_alu instid0(VALU_DEP_1) | instskip(NEXT) | instid1(VALU_DEP_1)
	v_mul_f32_e32 v16, v19, v8
	v_fma_f32 v16, v18, v9, -v16
	s_delay_alu instid0(VALU_DEP_1) | instskip(NEXT) | instid1(VALU_DEP_1)
	v_dual_mul_f32 v17, v19, v9 :: v_dual_sub_f32 v2, v2, v16
	v_fmac_f32_e32 v17, v18, v8
	s_delay_alu instid0(VALU_DEP_1)
	v_sub_f32_e32 v3, v3, v17
	s_cbranch_execnz .LBB15_42
.LBB15_41:                              ;   in Loop: Header=BB15_25 Depth=1
	s_delay_alu instid0(VALU_DEP_1) | instskip(NEXT) | instid1(VALU_DEP_1)
	v_dual_mul_f32 v2, s11, v8 :: v_dual_mul_f32 v3, s11, v9
	v_fma_f32 v2, v9, s10, -v2
	s_delay_alu instid0(VALU_DEP_1) | instskip(NEXT) | instid1(VALU_DEP_1)
	v_dual_fmac_f32 v3, s10, v8 :: v_dual_add_f32 v2, v6, v2
	v_add_f32_e32 v3, v7, v3
.LBB15_42:                              ;   in Loop: Header=BB15_25 Depth=1
	v_dual_sub_f32 v9, v14, v4 :: v_dual_sub_f32 v8, v15, v5
	s_and_not1_b32 vcc_lo, exec_lo, s0
	s_cbranch_vccnz .LBB15_52
; %bb.43:                               ;   in Loop: Header=BB15_25 Depth=1
	s_delay_alu instid0(VALU_DEP_1) | instskip(NEXT) | instid1(VALU_DEP_1)
	v_mul_f32_e32 v6, v19, v8
	v_fma_f32 v6, v18, v9, -v6
	s_delay_alu instid0(VALU_DEP_1) | instskip(NEXT) | instid1(VALU_DEP_1)
	v_dual_mul_f32 v7, v19, v9 :: v_dual_sub_f32 v6, v14, v6
	v_fmac_f32_e32 v7, v18, v8
	s_delay_alu instid0(VALU_DEP_1)
	v_sub_f32_e32 v7, v15, v7
	s_cbranch_execnz .LBB15_45
.LBB15_44:                              ;   in Loop: Header=BB15_25 Depth=1
	s_delay_alu instid0(VALU_DEP_1) | instskip(NEXT) | instid1(VALU_DEP_1)
	v_dual_mul_f32 v6, s11, v8 :: v_dual_mul_f32 v7, s11, v9
	v_fma_f32 v6, v9, s10, -v6
	s_delay_alu instid0(VALU_DEP_1) | instskip(NEXT) | instid1(VALU_DEP_1)
	v_dual_fmac_f32 v7, s10, v8 :: v_dual_add_f32 v6, v4, v6
	v_add_f32_e32 v7, v5, v7
.LBB15_45:                              ;   in Loop: Header=BB15_25 Depth=1
	s_and_saveexec_b32 s13, s1
	s_delay_alu instid0(SALU_CYCLE_1)
	s_xor_b32 s1, exec_lo, s13
	s_cbranch_execnz .LBB15_53
; %bb.46:                               ;   in Loop: Header=BB15_25 Depth=1
	s_or_b32 exec_lo, exec_lo, s1
	s_and_saveexec_b32 s1, s2
	s_cbranch_execnz .LBB15_54
.LBB15_47:                              ;   in Loop: Header=BB15_25 Depth=1
	s_or_b32 exec_lo, exec_lo, s1
	s_and_saveexec_b32 s1, s3
	s_cbranch_execnz .LBB15_55
.LBB15_48:                              ;   in Loop: Header=BB15_25 Depth=1
	s_or_b32 exec_lo, exec_lo, s1
	s_and_saveexec_b32 s1, s4
	s_cbranch_execz .LBB15_24
	s_branch .LBB15_56
.LBB15_49:                              ;   in Loop: Header=BB15_25 Depth=1
                                        ; implicit-def: $vgpr11
	s_branch .LBB15_35
.LBB15_50:                              ;   in Loop: Header=BB15_25 Depth=1
                                        ; implicit-def: $vgpr13
	s_branch .LBB15_38
.LBB15_51:                              ;   in Loop: Header=BB15_25 Depth=1
                                        ; implicit-def: $vgpr3
	s_branch .LBB15_41
.LBB15_52:                              ;   in Loop: Header=BB15_25 Depth=1
                                        ; implicit-def: $vgpr7
	s_branch .LBB15_44
.LBB15_53:                              ;   in Loop: Header=BB15_25 Depth=1
	v_add_co_u32 v4, vcc_lo, v26, s6
	v_add_co_ci_u32_e32 v5, vcc_lo, s7, v27, vcc_lo
	global_store_b64 v[4:5], v[10:11], off offset:-4
	s_or_b32 exec_lo, exec_lo, s1
	s_and_saveexec_b32 s1, s2
	s_cbranch_execz .LBB15_47
.LBB15_54:                              ;   in Loop: Header=BB15_25 Depth=1
	v_add_co_u32 v4, vcc_lo, v24, s6
	v_add_co_ci_u32_e32 v5, vcc_lo, s7, v25, vcc_lo
	global_store_b64 v[4:5], v[12:13], off
	s_or_b32 exec_lo, exec_lo, s1
	s_and_saveexec_b32 s1, s3
	s_cbranch_execz .LBB15_48
.LBB15_55:                              ;   in Loop: Header=BB15_25 Depth=1
	v_add_co_u32 v4, vcc_lo, v38, s6
	v_add_co_ci_u32_e32 v5, vcc_lo, s7, v39, vcc_lo
	global_store_b64 v[4:5], v[2:3], off
	s_or_b32 exec_lo, exec_lo, s1
	s_and_saveexec_b32 s1, s4
	s_cbranch_execz .LBB15_24
.LBB15_56:                              ;   in Loop: Header=BB15_25 Depth=1
	v_add_co_u32 v2, vcc_lo, v36, s6
	v_add_co_ci_u32_e32 v3, vcc_lo, s7, v37, vcc_lo
	global_store_b64 v[2:3], v[6:7], off offset:-4
	s_branch .LBB15_24
.LBB15_57:
	s_nop 0
	s_sendmsg sendmsg(MSG_DEALLOC_VGPRS)
	s_endpgm
	.section	.rodata,"a",@progbits
	.p2align	6, 0x0
	.amdhsa_kernel _ZN2at6native12_GLOBAL__N_125multi_tensor_apply_kernelINS1_18TensorListMetadataILi3EEENS1_22TernaryOpScalarFunctorIN3c107complexIfEELi3ELi2ELi2EEEJNS0_11LerpFunctorIS8_EES8_EEEvT_T0_DpT1_
		.amdhsa_group_segment_fixed_size 0
		.amdhsa_private_segment_fixed_size 0
		.amdhsa_kernarg_size 3416
		.amdhsa_user_sgpr_count 15
		.amdhsa_user_sgpr_dispatch_ptr 0
		.amdhsa_user_sgpr_queue_ptr 0
		.amdhsa_user_sgpr_kernarg_segment_ptr 1
		.amdhsa_user_sgpr_dispatch_id 0
		.amdhsa_user_sgpr_private_segment_size 0
		.amdhsa_wavefront_size32 1
		.amdhsa_uses_dynamic_stack 0
		.amdhsa_enable_private_segment 0
		.amdhsa_system_sgpr_workgroup_id_x 1
		.amdhsa_system_sgpr_workgroup_id_y 0
		.amdhsa_system_sgpr_workgroup_id_z 0
		.amdhsa_system_sgpr_workgroup_info 0
		.amdhsa_system_vgpr_workitem_id 0
		.amdhsa_next_free_vgpr 48
		.amdhsa_next_free_sgpr 27
		.amdhsa_reserve_vcc 1
		.amdhsa_float_round_mode_32 0
		.amdhsa_float_round_mode_16_64 0
		.amdhsa_float_denorm_mode_32 3
		.amdhsa_float_denorm_mode_16_64 3
		.amdhsa_dx10_clamp 1
		.amdhsa_ieee_mode 1
		.amdhsa_fp16_overflow 0
		.amdhsa_workgroup_processor_mode 1
		.amdhsa_memory_ordered 1
		.amdhsa_forward_progress 0
		.amdhsa_shared_vgpr_count 0
		.amdhsa_exception_fp_ieee_invalid_op 0
		.amdhsa_exception_fp_denorm_src 0
		.amdhsa_exception_fp_ieee_div_zero 0
		.amdhsa_exception_fp_ieee_overflow 0
		.amdhsa_exception_fp_ieee_underflow 0
		.amdhsa_exception_fp_ieee_inexact 0
		.amdhsa_exception_int_div_zero 0
	.end_amdhsa_kernel
	.section	.text._ZN2at6native12_GLOBAL__N_125multi_tensor_apply_kernelINS1_18TensorListMetadataILi3EEENS1_22TernaryOpScalarFunctorIN3c107complexIfEELi3ELi2ELi2EEEJNS0_11LerpFunctorIS8_EES8_EEEvT_T0_DpT1_,"axG",@progbits,_ZN2at6native12_GLOBAL__N_125multi_tensor_apply_kernelINS1_18TensorListMetadataILi3EEENS1_22TernaryOpScalarFunctorIN3c107complexIfEELi3ELi2ELi2EEEJNS0_11LerpFunctorIS8_EES8_EEEvT_T0_DpT1_,comdat
.Lfunc_end15:
	.size	_ZN2at6native12_GLOBAL__N_125multi_tensor_apply_kernelINS1_18TensorListMetadataILi3EEENS1_22TernaryOpScalarFunctorIN3c107complexIfEELi3ELi2ELi2EEEJNS0_11LerpFunctorIS8_EES8_EEEvT_T0_DpT1_, .Lfunc_end15-_ZN2at6native12_GLOBAL__N_125multi_tensor_apply_kernelINS1_18TensorListMetadataILi3EEENS1_22TernaryOpScalarFunctorIN3c107complexIfEELi3ELi2ELi2EEEJNS0_11LerpFunctorIS8_EES8_EEEvT_T0_DpT1_
                                        ; -- End function
	.section	.AMDGPU.csdata,"",@progbits
; Kernel info:
; codeLenInByte = 2476
; NumSgprs: 29
; NumVgprs: 48
; ScratchSize: 0
; MemoryBound: 1
; FloatMode: 240
; IeeeMode: 1
; LDSByteSize: 0 bytes/workgroup (compile time only)
; SGPRBlocks: 3
; VGPRBlocks: 5
; NumSGPRsForWavesPerEU: 29
; NumVGPRsForWavesPerEU: 48
; Occupancy: 16
; WaveLimiterHint : 0
; COMPUTE_PGM_RSRC2:SCRATCH_EN: 0
; COMPUTE_PGM_RSRC2:USER_SGPR: 15
; COMPUTE_PGM_RSRC2:TRAP_HANDLER: 0
; COMPUTE_PGM_RSRC2:TGID_X_EN: 1
; COMPUTE_PGM_RSRC2:TGID_Y_EN: 0
; COMPUTE_PGM_RSRC2:TGID_Z_EN: 0
; COMPUTE_PGM_RSRC2:TIDIG_COMP_CNT: 0
	.section	.text._ZN2at6native12_GLOBAL__N_125multi_tensor_apply_kernelINS1_18TensorListMetadataILi3EEENS1_22TernaryOpScalarFunctorIN3c104HalfELi3ELi2ELi2EEEJNS0_11LerpFunctorIfEEfEEEvT_T0_DpT1_,"axG",@progbits,_ZN2at6native12_GLOBAL__N_125multi_tensor_apply_kernelINS1_18TensorListMetadataILi3EEENS1_22TernaryOpScalarFunctorIN3c104HalfELi3ELi2ELi2EEEJNS0_11LerpFunctorIfEEfEEEvT_T0_DpT1_,comdat
	.globl	_ZN2at6native12_GLOBAL__N_125multi_tensor_apply_kernelINS1_18TensorListMetadataILi3EEENS1_22TernaryOpScalarFunctorIN3c104HalfELi3ELi2ELi2EEEJNS0_11LerpFunctorIfEEfEEEvT_T0_DpT1_ ; -- Begin function _ZN2at6native12_GLOBAL__N_125multi_tensor_apply_kernelINS1_18TensorListMetadataILi3EEENS1_22TernaryOpScalarFunctorIN3c104HalfELi3ELi2ELi2EEEJNS0_11LerpFunctorIfEEfEEEvT_T0_DpT1_
	.p2align	8
	.type	_ZN2at6native12_GLOBAL__N_125multi_tensor_apply_kernelINS1_18TensorListMetadataILi3EEENS1_22TernaryOpScalarFunctorIN3c104HalfELi3ELi2ELi2EEEJNS0_11LerpFunctorIfEEfEEEvT_T0_DpT1_,@function
_ZN2at6native12_GLOBAL__N_125multi_tensor_apply_kernelINS1_18TensorListMetadataILi3EEENS1_22TernaryOpScalarFunctorIN3c104HalfELi3ELi2ELi2EEEJNS0_11LerpFunctorIfEEfEEEvT_T0_DpT1_: ; @_ZN2at6native12_GLOBAL__N_125multi_tensor_apply_kernelINS1_18TensorListMetadataILi3EEENS1_22TernaryOpScalarFunctorIN3c104HalfELi3ELi2ELi2EEEJNS0_11LerpFunctorIfEEfEEEvT_T0_DpT1_
; %bb.0:
	v_mov_b32_e32 v1, s15
	s_add_u32 s2, s0, s15
	s_mul_hi_u32 s3, s15, 3
	s_mul_i32 s15, s15, 3
	s_addc_u32 s4, s1, 0
	global_load_u8 v1, v1, s[0:1] offset:1536
	s_add_u32 s2, s2, s15
	s_addc_u32 s3, s4, s3
	s_mov_b32 s23, 0
	s_load_b32 s2, s[2:3], 0x740
	s_mov_b32 s25, s23
	s_waitcnt vmcnt(0)
	v_readfirstlane_b32 s3, v1
	s_delay_alu instid0(VALU_DEP_1)
	s_lshl_b32 s3, s3, 3
	s_clause 0x3
	s_load_b64 s[12:13], s[0:1], s3 offset:0x0
	s_load_b64 s[14:15], s[0:1], s3 offset:0x180
	;; [unrolled: 1-line block ×4, first 2 shown]
	s_waitcnt lgkmcnt(0)
	s_ashr_i32 s3, s2, 31
	s_delay_alu instid0(SALU_CYCLE_1) | instskip(NEXT) | instid1(SALU_CYCLE_1)
	s_lshl_b64 s[6:7], s[2:3], 17
	s_add_u32 s10, s12, s6
	s_addc_u32 s11, s13, s7
	s_and_b32 s22, s10, 7
	s_add_u32 s18, s14, s6
	s_addc_u32 s19, s15, s7
	s_add_u32 s20, s16, s6
	s_addc_u32 s21, s17, s7
	s_or_b32 s8, s20, s18
	s_delay_alu instid0(SALU_CYCLE_1) | instskip(NEXT) | instid1(SALU_CYCLE_1)
	s_and_b32 s8, s8, 7
	s_cmp_lg_u32 s8, 0
	s_cselect_b32 s26, -1, 0
	s_lshl_b64 s[2:3], s[2:3], 16
	s_delay_alu instid0(SALU_CYCLE_1) | instskip(SKIP_3) | instid1(SALU_CYCLE_1)
	s_sub_u32 s8, s4, s2
	s_subb_u32 s9, s5, s3
	s_load_b32 s5, s[0:1], 0xc4c
	s_and_b32 s24, s4, 3
	s_or_b64 s[2:3], s[22:23], s[24:25]
	s_delay_alu instid0(SALU_CYCLE_1) | instskip(SKIP_1) | instid1(SALU_CYCLE_1)
	s_cmp_lg_u64 s[2:3], 0
	s_cselect_b32 s2, -1, 0
	s_or_b32 s2, s26, s2
	s_delay_alu instid0(SALU_CYCLE_1)
	s_and_not1_b32 vcc_lo, exec_lo, s2
	s_mov_b32 s2, -1
	s_cbranch_vccz .LBB16_5
; %bb.1:
	v_dual_mov_b32 v2, 0 :: v_dual_lshlrev_b32 v1, 2, v0
	s_mov_b32 s22, exec_lo
	s_delay_alu instid0(VALU_DEP_1)
	v_cmpx_gt_i64_e64 s[8:9], v[1:2]
	s_cbranch_execz .LBB16_4
; %bb.2:
	s_load_b32 s2, s[0:1], 0xc5c
	s_waitcnt lgkmcnt(0)
	v_cmp_lt_f32_e64 vcc_lo, |s5|, 0.5
	v_sub_f32_e64 v3, 1.0, s5
	v_lshlrev_b32_e32 v4, 3, v0
	s_and_b32 s2, s2, 0xffff
	s_delay_alu instid0(SALU_CYCLE_1)
	v_add_lshl_u32 v1, v0, s2, 2
	s_lshl_b32 s24, s2, 2
	s_lshl_b32 s25, s2, 3
.LBB16_3:                               ; =>This Inner Loop Header: Depth=1
	v_add_co_u32 v5, s2, s10, v4
	s_delay_alu instid0(VALU_DEP_1) | instskip(SKIP_1) | instid1(VALU_DEP_1)
	v_add_co_ci_u32_e64 v6, null, s11, 0, s2
	v_add_co_u32 v7, s2, s18, v4
	v_add_co_ci_u32_e64 v8, null, s19, 0, s2
	global_load_b64 v[5:6], v[5:6], off
	global_load_b64 v[7:8], v[7:8], off
	v_cmp_le_i64_e64 s2, s[8:9], v[1:2]
	v_cmp_lt_u64_e64 s3, 0xffff, v[1:2]
	v_add_co_u32 v9, s4, s20, v4
	s_delay_alu instid0(VALU_DEP_1) | instskip(SKIP_1) | instid1(VALU_DEP_4)
	v_add_co_ci_u32_e64 v10, null, s21, 0, s4
	v_add_co_u32 v1, s4, v1, s24
	s_or_b32 s2, s2, s3
	s_add_u32 s10, s10, s25
	s_addc_u32 s11, s11, 0
	s_add_u32 s20, s20, s25
	s_addc_u32 s21, s21, 0
	s_add_u32 s18, s18, s25
	v_add_co_ci_u32_e64 v2, s4, 0, v2, s4
	s_addc_u32 s19, s19, 0
	s_and_b32 s2, exec_lo, s2
	s_delay_alu instid0(SALU_CYCLE_1)
	s_or_b32 s23, s2, s23
	s_waitcnt vmcnt(1)
	v_lshrrev_b32_e32 v11, 16, v5
	v_lshrrev_b32_e32 v12, 16, v6
	v_cvt_f32_f16_e32 v13, v5
	s_waitcnt vmcnt(0)
	v_cvt_f32_f16_e32 v14, v7
	v_lshrrev_b32_e32 v15, 16, v7
	v_lshrrev_b32_e32 v16, 16, v8
	v_cvt_f32_f16_e32 v17, v6
	v_cvt_f32_f16_e32 v18, v8
	;; [unrolled: 1-line block ×4, first 2 shown]
	v_sub_f32_e32 v13, v14, v13
	v_cvt_f32_f16_e32 v14, v15
	v_cvt_f32_f16_e32 v15, v16
	v_sub_f32_e32 v16, v18, v17
	s_delay_alu instid0(VALU_DEP_2) | instskip(NEXT) | instid1(VALU_DEP_2)
	v_sub_f32_e32 v12, v15, v12
	v_fma_mix_f32 v15, -v3, v16, v8 op_sel_hi:[0,0,1]
	v_sub_f32_e32 v11, v14, v11
	v_fma_mix_f32 v14, v16, s5, v6 op_sel_hi:[0,0,1]
	v_fma_mix_f32 v17, v13, s5, v5 op_sel_hi:[0,0,1]
	v_fma_mix_f32 v13, -v3, v13, v7 op_sel_hi:[0,0,1]
	v_fma_mix_f32 v6, v12, s5, v6 op_sel:[0,0,1] op_sel_hi:[0,0,1]
	v_fma_mix_f32 v8, -v3, v12, v8 op_sel:[0,0,1] op_sel_hi:[0,0,1]
	v_cndmask_b32_e32 v12, v15, v14, vcc_lo
	v_fma_mix_f32 v5, v11, s5, v5 op_sel:[0,0,1] op_sel_hi:[0,0,1]
	v_fma_mix_f32 v7, -v3, v11, v7 op_sel:[0,0,1] op_sel_hi:[0,0,1]
	s_delay_alu instid0(VALU_DEP_4) | instskip(NEXT) | instid1(VALU_DEP_4)
	v_dual_cndmask_b32 v11, v13, v17 :: v_dual_cndmask_b32 v6, v8, v6
	v_cvt_f16_f32_e32 v8, v12
	s_delay_alu instid0(VALU_DEP_3) | instskip(NEXT) | instid1(VALU_DEP_3)
	v_cndmask_b32_e32 v5, v7, v5, vcc_lo
	v_cvt_f16_f32_e32 v7, v11
	s_delay_alu instid0(VALU_DEP_4) | instskip(NEXT) | instid1(VALU_DEP_3)
	v_cvt_f16_f32_e32 v6, v6
	v_cvt_f16_f32_e32 v5, v5
	s_delay_alu instid0(VALU_DEP_2) | instskip(NEXT) | instid1(VALU_DEP_2)
	v_pack_b32_f16 v6, v8, v6
	v_pack_b32_f16 v5, v7, v5
	global_store_b64 v[9:10], v[5:6], off
	s_and_not1_b32 exec_lo, exec_lo, s23
	s_cbranch_execnz .LBB16_3
.LBB16_4:
	s_or_b32 exec_lo, exec_lo, s22
	s_mov_b32 s2, 0
.LBB16_5:
	s_delay_alu instid0(SALU_CYCLE_1)
	s_and_not1_b32 vcc_lo, exec_lo, s2
	s_cbranch_vccnz .LBB16_25
; %bb.6:
	v_cmp_lt_i64_e64 s2, s[8:9], 1
	s_delay_alu instid0(VALU_DEP_1)
	s_and_b32 vcc_lo, exec_lo, s2
	s_cbranch_vccnz .LBB16_25
; %bb.7:
	s_load_b32 s1, s[0:1], 0xc5c
	v_dual_mov_b32 v15, 0 :: v_dual_lshlrev_b32 v14, 1, v0
	v_cmp_gt_u64_e64 s2, 0x10000, s[8:9]
	s_waitcnt lgkmcnt(0)
	v_cmp_lt_f32_e64 s0, |s5|, 0.5
	v_sub_f32_e64 v1, 1.0, s5
	v_add_co_u32 v2, s3, s12, v14
	s_delay_alu instid0(VALU_DEP_1) | instskip(SKIP_1) | instid1(VALU_DEP_1)
	v_add_co_ci_u32_e64 v3, null, s13, 0, s3
	v_add_co_u32 v4, s3, s14, v14
	v_add_co_ci_u32_e64 v5, null, s15, 0, s3
	v_add_co_u32 v6, s3, s16, v14
	s_delay_alu instid0(VALU_DEP_1)
	v_add_co_ci_u32_e64 v7, null, s17, 0, s3
	s_and_b32 s1, s1, 0xffff
	s_and_b32 s2, s2, exec_lo
	v_mad_u64_u32 v[12:13], null, s1, 6, v[14:15]
	s_cselect_b32 s11, s9, 0
	s_cselect_b32 s10, s8, 0x10000
	s_mul_i32 s3, s1, 3
	s_lshl_b32 s18, s1, 2
	s_lshl_b32 s2, s1, 1
	v_add_co_u32 v21, s4, s18, v14
	v_add_co_u32 v14, s3, s3, v0
	v_add_co_u32 v8, vcc_lo, s12, v12
	v_add_co_ci_u32_e64 v15, null, 0, 0, s3
	v_add_co_u32 v20, s3, v0, s1
	v_add_co_ci_u32_e32 v9, vcc_lo, s13, v13, vcc_lo
	v_add_co_u32 v10, vcc_lo, s14, v12
	v_add_co_ci_u32_e32 v11, vcc_lo, s15, v13, vcc_lo
	v_add_co_u32 v12, vcc_lo, s16, v12
	v_add_co_ci_u32_e64 v22, null, 0, 0, s4
	v_lshlrev_b32_e32 v30, 1, v20
	v_add_co_ci_u32_e32 v13, vcc_lo, s17, v13, vcc_lo
	v_add_co_u32 v16, vcc_lo, s12, v21
	v_add_co_u32 v24, s2, s2, v0
	v_add_co_ci_u32_e32 v17, vcc_lo, s13, v22, vcc_lo
	v_add_co_ci_u32_e64 v25, null, 0, 0, s2
	v_add_co_u32 v26, s2, s12, v30
	v_add_co_u32 v18, vcc_lo, s14, v21
	v_add_co_ci_u32_e64 v27, null, s13, 0, s2
	v_add_co_u32 v28, s2, s14, v30
	v_add_co_ci_u32_e32 v19, vcc_lo, s15, v22, vcc_lo
	v_add_co_u32 v21, vcc_lo, s16, v21
	v_add_co_ci_u32_e64 v29, null, s15, 0, s2
	v_add_co_u32 v30, s2, s16, v30
	v_add_co_ci_u32_e32 v22, vcc_lo, s17, v22, vcc_lo
	v_add_co_ci_u32_e64 v23, null, 0, 0, s3
	v_add_co_ci_u32_e64 v31, null, s17, 0, s2
	s_lshl_b32 s14, s1, 3
	s_mov_b64 s[12:13], 0
	s_branch .LBB16_9
.LBB16_8:                               ;   in Loop: Header=BB16_9 Depth=1
	s_or_b32 exec_lo, exec_lo, s1
	v_add_co_u32 v2, vcc_lo, v2, s14
	v_add_co_ci_u32_e32 v3, vcc_lo, 0, v3, vcc_lo
	v_add_co_u32 v4, vcc_lo, v4, s14
	v_add_co_ci_u32_e32 v5, vcc_lo, 0, v5, vcc_lo
	;; [unrolled: 2-line block ×9, first 2 shown]
	s_add_u32 s12, s12, s18
	v_add_co_u32 v26, vcc_lo, v26, s14
	s_addc_u32 s13, s13, 0
	v_add_co_ci_u32_e32 v27, vcc_lo, 0, v27, vcc_lo
	v_cmp_ge_i64_e64 s1, s[12:13], s[8:9]
	v_cmp_lt_u64_e64 s2, 0xffff, s[12:13]
	v_add_co_u32 v28, vcc_lo, v28, s14
	v_add_co_ci_u32_e32 v29, vcc_lo, 0, v29, vcc_lo
	v_add_co_u32 v30, vcc_lo, v30, s14
	v_add_co_ci_u32_e32 v31, vcc_lo, 0, v31, vcc_lo
	s_or_b32 s1, s1, s2
	s_delay_alu instid0(SALU_CYCLE_1)
	s_and_b32 vcc_lo, exec_lo, s1
	s_cbranch_vccnz .LBB16_25
.LBB16_9:                               ; =>This Inner Loop Header: Depth=1
	s_waitcnt vmcnt(1)
	v_add_co_u32 v32, s1, v0, s12
	s_delay_alu instid0(VALU_DEP_1) | instskip(SKIP_2) | instid1(VALU_DEP_2)
	v_add_co_ci_u32_e64 v33, null, 0, s13, s1
	s_waitcnt vmcnt(0)
	v_mov_b32_e32 v34, 0
	v_cmp_gt_u64_e32 vcc_lo, s[10:11], v[32:33]
	v_mov_b32_e32 v33, 0
	s_and_saveexec_b32 s2, vcc_lo
	s_cbranch_execz .LBB16_11
; %bb.10:                               ;   in Loop: Header=BB16_9 Depth=1
	v_add_co_u32 v32, s1, v2, s6
	s_delay_alu instid0(VALU_DEP_1) | instskip(SKIP_1) | instid1(VALU_DEP_1)
	v_add_co_ci_u32_e64 v33, s1, s7, v3, s1
	v_add_co_u32 v34, s1, v4, s6
	v_add_co_ci_u32_e64 v35, s1, s7, v5, s1
	global_load_u16 v33, v[32:33], off
	global_load_u16 v34, v[34:35], off
.LBB16_11:                              ;   in Loop: Header=BB16_9 Depth=1
	s_or_b32 exec_lo, exec_lo, s2
	v_add_co_u32 v35, s1, v20, s12
	s_delay_alu instid0(VALU_DEP_1) | instskip(SKIP_1) | instid1(VALU_DEP_2)
	v_add_co_ci_u32_e64 v36, s1, s13, v23, s1
	v_mov_b32_e32 v32, 0
	v_cmp_gt_u64_e64 s1, s[10:11], v[35:36]
	v_dual_mov_b32 v35, 0 :: v_dual_mov_b32 v36, 0
	s_delay_alu instid0(VALU_DEP_2)
	s_and_saveexec_b32 s3, s1
	s_cbranch_execz .LBB16_13
; %bb.12:                               ;   in Loop: Header=BB16_9 Depth=1
	v_add_co_u32 v35, s2, v26, s6
	s_delay_alu instid0(VALU_DEP_1) | instskip(SKIP_1) | instid1(VALU_DEP_1)
	v_add_co_ci_u32_e64 v36, s2, s7, v27, s2
	v_add_co_u32 v37, s2, v28, s6
	v_add_co_ci_u32_e64 v38, s2, s7, v29, s2
	global_load_u16 v35, v[35:36], off
	global_load_u16 v36, v[37:38], off
.LBB16_13:                              ;   in Loop: Header=BB16_9 Depth=1
	s_or_b32 exec_lo, exec_lo, s3
	v_add_co_u32 v37, s2, v24, s12
	s_delay_alu instid0(VALU_DEP_1) | instskip(NEXT) | instid1(VALU_DEP_1)
	v_add_co_ci_u32_e64 v38, s2, s13, v25, s2
	v_cmp_gt_u64_e64 s2, s[10:11], v[37:38]
	v_mov_b32_e32 v37, 0
	s_delay_alu instid0(VALU_DEP_2)
	s_and_saveexec_b32 s4, s2
	s_cbranch_execz .LBB16_15
; %bb.14:                               ;   in Loop: Header=BB16_9 Depth=1
	v_add_co_u32 v37, s3, v16, s6
	s_delay_alu instid0(VALU_DEP_1) | instskip(SKIP_1) | instid1(VALU_DEP_1)
	v_add_co_ci_u32_e64 v38, s3, s7, v17, s3
	v_add_co_u32 v39, s3, v18, s6
	v_add_co_ci_u32_e64 v40, s3, s7, v19, s3
	global_load_u16 v32, v[37:38], off
	global_load_u16 v37, v[39:40], off
.LBB16_15:                              ;   in Loop: Header=BB16_9 Depth=1
	s_or_b32 exec_lo, exec_lo, s4
	v_add_co_u32 v38, s3, v14, s12
	s_delay_alu instid0(VALU_DEP_1) | instskip(NEXT) | instid1(VALU_DEP_1)
	v_add_co_ci_u32_e64 v39, s3, s13, v15, s3
	v_cmp_gt_u64_e64 s3, s[10:11], v[38:39]
	v_dual_mov_b32 v38, 0 :: v_dual_mov_b32 v39, 0
	s_delay_alu instid0(VALU_DEP_2)
	s_and_saveexec_b32 s15, s3
	s_cbranch_execnz .LBB16_20
; %bb.16:                               ;   in Loop: Header=BB16_9 Depth=1
	s_or_b32 exec_lo, exec_lo, s15
	s_and_saveexec_b32 s4, vcc_lo
	s_cbranch_execnz .LBB16_21
.LBB16_17:                              ;   in Loop: Header=BB16_9 Depth=1
	s_or_b32 exec_lo, exec_lo, s4
	s_and_saveexec_b32 s4, s1
	s_cbranch_execnz .LBB16_22
.LBB16_18:                              ;   in Loop: Header=BB16_9 Depth=1
	s_or_b32 exec_lo, exec_lo, s4
	s_and_saveexec_b32 s1, s2
	s_cbranch_execnz .LBB16_23
.LBB16_19:                              ;   in Loop: Header=BB16_9 Depth=1
	s_or_b32 exec_lo, exec_lo, s1
	s_and_saveexec_b32 s1, s3
	s_cbranch_execz .LBB16_8
	s_branch .LBB16_24
.LBB16_20:                              ;   in Loop: Header=BB16_9 Depth=1
	v_add_co_u32 v38, s4, v8, s6
	s_delay_alu instid0(VALU_DEP_1) | instskip(SKIP_1) | instid1(VALU_DEP_1)
	v_add_co_ci_u32_e64 v39, s4, s7, v9, s4
	v_add_co_u32 v40, s4, v10, s6
	v_add_co_ci_u32_e64 v41, s4, s7, v11, s4
	global_load_u16 v38, v[38:39], off
	global_load_u16 v39, v[40:41], off
	s_or_b32 exec_lo, exec_lo, s15
	s_and_saveexec_b32 s4, vcc_lo
	s_cbranch_execz .LBB16_17
.LBB16_21:                              ;   in Loop: Header=BB16_9 Depth=1
	s_waitcnt vmcnt(0)
	v_cvt_f32_f16_e32 v40, v34
	v_cvt_f32_f16_e32 v41, v33
	s_delay_alu instid0(VALU_DEP_1) | instskip(NEXT) | instid1(VALU_DEP_1)
	v_sub_f32_e32 v40, v40, v41
	v_fma_mix_f32 v33, v40, s5, v33 op_sel_hi:[0,0,1]
	v_fma_mix_f32 v34, -v1, v40, v34 op_sel_hi:[0,0,1]
	s_delay_alu instid0(VALU_DEP_1) | instskip(NEXT) | instid1(VALU_DEP_1)
	v_cndmask_b32_e64 v33, v34, v33, s0
	v_cvt_f16_f32_e32 v40, v33
	v_add_co_u32 v33, vcc_lo, v6, s6
	v_add_co_ci_u32_e32 v34, vcc_lo, s7, v7, vcc_lo
	global_store_b16 v[33:34], v40, off
	s_or_b32 exec_lo, exec_lo, s4
	s_and_saveexec_b32 s4, s1
	s_cbranch_execz .LBB16_18
.LBB16_22:                              ;   in Loop: Header=BB16_9 Depth=1
	s_waitcnt vmcnt(1)
	v_cvt_f32_f16_e32 v33, v35
	s_waitcnt vmcnt(0)
	v_cvt_f32_f16_e32 v34, v36
	s_delay_alu instid0(VALU_DEP_1) | instskip(NEXT) | instid1(VALU_DEP_1)
	v_sub_f32_e32 v33, v34, v33
	v_fma_mix_f32 v34, v33, s5, v35 op_sel_hi:[0,0,1]
	v_fma_mix_f32 v33, -v1, v33, v36 op_sel_hi:[0,0,1]
	s_delay_alu instid0(VALU_DEP_1) | instskip(NEXT) | instid1(VALU_DEP_1)
	v_cndmask_b32_e64 v33, v33, v34, s0
	v_cvt_f16_f32_e32 v35, v33
	v_add_co_u32 v33, vcc_lo, v30, s6
	v_add_co_ci_u32_e32 v34, vcc_lo, s7, v31, vcc_lo
	global_store_b16 v[33:34], v35, off
	s_or_b32 exec_lo, exec_lo, s4
	s_and_saveexec_b32 s1, s2
	s_cbranch_execz .LBB16_19
.LBB16_23:                              ;   in Loop: Header=BB16_9 Depth=1
	s_waitcnt vmcnt(1)
	v_cvt_f32_f16_e32 v33, v32
	s_waitcnt vmcnt(0)
	v_cvt_f32_f16_e32 v34, v37
	s_delay_alu instid0(VALU_DEP_1) | instskip(NEXT) | instid1(VALU_DEP_1)
	v_sub_f32_e32 v33, v34, v33
	v_fma_mix_f32 v32, v33, s5, v32 op_sel_hi:[0,0,1]
	v_fma_mix_f32 v33, -v1, v33, v37 op_sel_hi:[0,0,1]
	s_delay_alu instid0(VALU_DEP_1) | instskip(NEXT) | instid1(VALU_DEP_1)
	v_cndmask_b32_e64 v32, v33, v32, s0
	v_cvt_f16_f32_e32 v34, v32
	v_add_co_u32 v32, vcc_lo, v21, s6
	v_add_co_ci_u32_e32 v33, vcc_lo, s7, v22, vcc_lo
	global_store_b16 v[32:33], v34, off
	s_or_b32 exec_lo, exec_lo, s1
	s_and_saveexec_b32 s1, s3
	s_cbranch_execz .LBB16_8
.LBB16_24:                              ;   in Loop: Header=BB16_9 Depth=1
	s_waitcnt vmcnt(1)
	v_cvt_f32_f16_e32 v32, v38
	s_waitcnt vmcnt(0)
	v_cvt_f32_f16_e32 v33, v39
	s_delay_alu instid0(VALU_DEP_1) | instskip(NEXT) | instid1(VALU_DEP_1)
	v_sub_f32_e32 v32, v33, v32
	v_fma_mix_f32 v33, v32, s5, v38 op_sel_hi:[0,0,1]
	v_fma_mix_f32 v32, -v1, v32, v39 op_sel_hi:[0,0,1]
	s_delay_alu instid0(VALU_DEP_1) | instskip(NEXT) | instid1(VALU_DEP_1)
	v_cndmask_b32_e64 v32, v32, v33, s0
	v_cvt_f16_f32_e32 v34, v32
	v_add_co_u32 v32, vcc_lo, v12, s6
	v_add_co_ci_u32_e32 v33, vcc_lo, s7, v13, vcc_lo
	global_store_b16 v[32:33], v34, off
	s_branch .LBB16_8
.LBB16_25:
	s_nop 0
	s_sendmsg sendmsg(MSG_DEALLOC_VGPRS)
	s_endpgm
	.section	.rodata,"a",@progbits
	.p2align	6, 0x0
	.amdhsa_kernel _ZN2at6native12_GLOBAL__N_125multi_tensor_apply_kernelINS1_18TensorListMetadataILi3EEENS1_22TernaryOpScalarFunctorIN3c104HalfELi3ELi2ELi2EEEJNS0_11LerpFunctorIfEEfEEEvT_T0_DpT1_
		.amdhsa_group_segment_fixed_size 0
		.amdhsa_private_segment_fixed_size 0
		.amdhsa_kernarg_size 3408
		.amdhsa_user_sgpr_count 15
		.amdhsa_user_sgpr_dispatch_ptr 0
		.amdhsa_user_sgpr_queue_ptr 0
		.amdhsa_user_sgpr_kernarg_segment_ptr 1
		.amdhsa_user_sgpr_dispatch_id 0
		.amdhsa_user_sgpr_private_segment_size 0
		.amdhsa_wavefront_size32 1
		.amdhsa_uses_dynamic_stack 0
		.amdhsa_enable_private_segment 0
		.amdhsa_system_sgpr_workgroup_id_x 1
		.amdhsa_system_sgpr_workgroup_id_y 0
		.amdhsa_system_sgpr_workgroup_id_z 0
		.amdhsa_system_sgpr_workgroup_info 0
		.amdhsa_system_vgpr_workitem_id 0
		.amdhsa_next_free_vgpr 42
		.amdhsa_next_free_sgpr 27
		.amdhsa_reserve_vcc 1
		.amdhsa_float_round_mode_32 0
		.amdhsa_float_round_mode_16_64 0
		.amdhsa_float_denorm_mode_32 3
		.amdhsa_float_denorm_mode_16_64 3
		.amdhsa_dx10_clamp 1
		.amdhsa_ieee_mode 1
		.amdhsa_fp16_overflow 0
		.amdhsa_workgroup_processor_mode 1
		.amdhsa_memory_ordered 1
		.amdhsa_forward_progress 0
		.amdhsa_shared_vgpr_count 0
		.amdhsa_exception_fp_ieee_invalid_op 0
		.amdhsa_exception_fp_denorm_src 0
		.amdhsa_exception_fp_ieee_div_zero 0
		.amdhsa_exception_fp_ieee_overflow 0
		.amdhsa_exception_fp_ieee_underflow 0
		.amdhsa_exception_fp_ieee_inexact 0
		.amdhsa_exception_int_div_zero 0
	.end_amdhsa_kernel
	.section	.text._ZN2at6native12_GLOBAL__N_125multi_tensor_apply_kernelINS1_18TensorListMetadataILi3EEENS1_22TernaryOpScalarFunctorIN3c104HalfELi3ELi2ELi2EEEJNS0_11LerpFunctorIfEEfEEEvT_T0_DpT1_,"axG",@progbits,_ZN2at6native12_GLOBAL__N_125multi_tensor_apply_kernelINS1_18TensorListMetadataILi3EEENS1_22TernaryOpScalarFunctorIN3c104HalfELi3ELi2ELi2EEEJNS0_11LerpFunctorIfEEfEEEvT_T0_DpT1_,comdat
.Lfunc_end16:
	.size	_ZN2at6native12_GLOBAL__N_125multi_tensor_apply_kernelINS1_18TensorListMetadataILi3EEENS1_22TernaryOpScalarFunctorIN3c104HalfELi3ELi2ELi2EEEJNS0_11LerpFunctorIfEEfEEEvT_T0_DpT1_, .Lfunc_end16-_ZN2at6native12_GLOBAL__N_125multi_tensor_apply_kernelINS1_18TensorListMetadataILi3EEENS1_22TernaryOpScalarFunctorIN3c104HalfELi3ELi2ELi2EEEJNS0_11LerpFunctorIfEEfEEEvT_T0_DpT1_
                                        ; -- End function
	.section	.AMDGPU.csdata,"",@progbits
; Kernel info:
; codeLenInByte = 2096
; NumSgprs: 29
; NumVgprs: 42
; ScratchSize: 0
; MemoryBound: 0
; FloatMode: 240
; IeeeMode: 1
; LDSByteSize: 0 bytes/workgroup (compile time only)
; SGPRBlocks: 3
; VGPRBlocks: 5
; NumSGPRsForWavesPerEU: 29
; NumVGPRsForWavesPerEU: 42
; Occupancy: 16
; WaveLimiterHint : 0
; COMPUTE_PGM_RSRC2:SCRATCH_EN: 0
; COMPUTE_PGM_RSRC2:USER_SGPR: 15
; COMPUTE_PGM_RSRC2:TRAP_HANDLER: 0
; COMPUTE_PGM_RSRC2:TGID_X_EN: 1
; COMPUTE_PGM_RSRC2:TGID_Y_EN: 0
; COMPUTE_PGM_RSRC2:TGID_Z_EN: 0
; COMPUTE_PGM_RSRC2:TIDIG_COMP_CNT: 0
	.section	.text._ZN2at6native12_GLOBAL__N_125multi_tensor_apply_kernelINS1_18TensorListMetadataILi3EEENS1_22TernaryOpScalarFunctorIN3c108BFloat16ELi3ELi2ELi2EEEJNS0_11LerpFunctorIfEEfEEEvT_T0_DpT1_,"axG",@progbits,_ZN2at6native12_GLOBAL__N_125multi_tensor_apply_kernelINS1_18TensorListMetadataILi3EEENS1_22TernaryOpScalarFunctorIN3c108BFloat16ELi3ELi2ELi2EEEJNS0_11LerpFunctorIfEEfEEEvT_T0_DpT1_,comdat
	.globl	_ZN2at6native12_GLOBAL__N_125multi_tensor_apply_kernelINS1_18TensorListMetadataILi3EEENS1_22TernaryOpScalarFunctorIN3c108BFloat16ELi3ELi2ELi2EEEJNS0_11LerpFunctorIfEEfEEEvT_T0_DpT1_ ; -- Begin function _ZN2at6native12_GLOBAL__N_125multi_tensor_apply_kernelINS1_18TensorListMetadataILi3EEENS1_22TernaryOpScalarFunctorIN3c108BFloat16ELi3ELi2ELi2EEEJNS0_11LerpFunctorIfEEfEEEvT_T0_DpT1_
	.p2align	8
	.type	_ZN2at6native12_GLOBAL__N_125multi_tensor_apply_kernelINS1_18TensorListMetadataILi3EEENS1_22TernaryOpScalarFunctorIN3c108BFloat16ELi3ELi2ELi2EEEJNS0_11LerpFunctorIfEEfEEEvT_T0_DpT1_,@function
_ZN2at6native12_GLOBAL__N_125multi_tensor_apply_kernelINS1_18TensorListMetadataILi3EEENS1_22TernaryOpScalarFunctorIN3c108BFloat16ELi3ELi2ELi2EEEJNS0_11LerpFunctorIfEEfEEEvT_T0_DpT1_: ; @_ZN2at6native12_GLOBAL__N_125multi_tensor_apply_kernelINS1_18TensorListMetadataILi3EEENS1_22TernaryOpScalarFunctorIN3c108BFloat16ELi3ELi2ELi2EEEJNS0_11LerpFunctorIfEEfEEEvT_T0_DpT1_
; %bb.0:
	v_mov_b32_e32 v1, s15
	s_add_u32 s2, s0, s15
	s_mul_hi_u32 s3, s15, 3
	s_mul_i32 s15, s15, 3
	s_addc_u32 s4, s1, 0
	global_load_u8 v1, v1, s[0:1] offset:1536
	s_load_b32 s18, s[0:1], 0xc4c
	s_add_u32 s2, s2, s15
	s_addc_u32 s3, s4, s3
	s_load_b32 s2, s[2:3], 0x740
	s_waitcnt vmcnt(0)
	v_readfirstlane_b32 s3, v1
	s_delay_alu instid0(VALU_DEP_1)
	s_lshl_b32 s3, s3, 3
	s_clause 0x3
	s_load_b64 s[14:15], s[0:1], s3 offset:0x180
	s_load_b64 s[12:13], s[0:1], s3 offset:0x300
	s_load_b64 s[16:17], s[0:1], s3 offset:0x0
	s_load_b64 s[4:5], s[0:1], s3 offset:0x480
	s_waitcnt lgkmcnt(0)
	s_ashr_i32 s3, s2, 31
	s_delay_alu instid0(SALU_CYCLE_1) | instskip(NEXT) | instid1(SALU_CYCLE_1)
	s_lshl_b64 s[8:9], s[2:3], 17
	s_add_u32 s6, s14, s8
	s_delay_alu instid0(SALU_CYCLE_1) | instskip(NEXT) | instid1(SALU_CYCLE_1)
	s_or_b32 s6, s12, s6
	s_and_b32 s7, s6, 7
	s_and_b32 s6, s16, 7
	s_cmp_lg_u32 s7, 0
	s_mov_b32 s7, 0
	s_cselect_b32 s19, -1, 0
	s_lshl_b64 s[2:3], s[2:3], 16
	s_mov_b32 s21, s7
	s_sub_u32 s10, s4, s2
	s_subb_u32 s11, s5, s3
	s_and_b32 s20, s4, 3
	s_delay_alu instid0(SALU_CYCLE_1) | instskip(NEXT) | instid1(SALU_CYCLE_1)
	s_or_b64 s[2:3], s[6:7], s[20:21]
	s_cmp_lg_u64 s[2:3], 0
	s_cselect_b32 s2, -1, 0
	s_delay_alu instid0(SALU_CYCLE_1) | instskip(NEXT) | instid1(SALU_CYCLE_1)
	s_or_b32 s2, s19, s2
	s_and_not1_b32 vcc_lo, exec_lo, s2
	s_mov_b32 s2, -1
	s_cbranch_vccz .LBB17_5
; %bb.1:
	v_dual_mov_b32 v2, 0 :: v_dual_lshlrev_b32 v1, 2, v0
	s_mov_b32 s7, exec_lo
	s_delay_alu instid0(VALU_DEP_1)
	v_cmpx_gt_i64_e64 s[10:11], v[1:2]
	s_cbranch_execz .LBB17_4
; %bb.2:
	s_load_b32 s2, s[0:1], 0xc5c
	v_lshlrev_b32_e32 v1, 3, v0
	v_cmp_lt_f32_e64 vcc_lo, |s18|, 0.5
	v_sub_f32_e64 v3, 1.0, s18
	s_mov_b32 s19, 0
	s_delay_alu instid0(VALU_DEP_3) | instskip(NEXT) | instid1(VALU_DEP_1)
	v_add_co_u32 v4, s3, s8, v1
	v_add_co_ci_u32_e64 v5, null, s9, 0, s3
	s_waitcnt lgkmcnt(0)
	s_and_b32 s2, s2, 0xffff
	s_delay_alu instid0(SALU_CYCLE_1)
	v_add_lshl_u32 v1, v0, s2, 2
	s_lshl_b32 s20, s2, 3
	s_lshl_b32 s21, s2, 2
.LBB17_3:                               ; =>This Inner Loop Header: Depth=1
	v_add_co_u32 v6, s2, s16, v4
	s_delay_alu instid0(VALU_DEP_1) | instskip(SKIP_1) | instid1(VALU_DEP_1)
	v_add_co_ci_u32_e64 v7, s2, s17, v5, s2
	v_add_co_u32 v8, s2, s14, v4
	v_add_co_ci_u32_e64 v9, s2, s15, v5, s2
	v_add_co_u32 v10, s2, s12, v4
	global_load_b64 v[6:7], v[6:7], off
	global_load_b64 v[8:9], v[8:9], off
	v_add_co_ci_u32_e64 v11, s2, s13, v5, s2
	v_cmp_le_i64_e64 s2, s[10:11], v[1:2]
	v_cmp_lt_u64_e64 s3, 0xffff, v[1:2]
	v_add_co_u32 v4, s4, v4, s20
	s_delay_alu instid0(VALU_DEP_1) | instskip(SKIP_1) | instid1(VALU_DEP_4)
	v_add_co_ci_u32_e64 v5, s4, 0, v5, s4
	v_add_co_u32 v1, s4, v1, s21
	s_or_b32 s2, s2, s3
	v_add_co_ci_u32_e64 v2, s4, 0, v2, s4
	s_and_b32 s2, exec_lo, s2
	s_delay_alu instid0(SALU_CYCLE_1)
	s_or_b32 s19, s2, s19
	s_waitcnt vmcnt(1)
	v_lshlrev_b32_e32 v12, 16, v6
	v_and_b32_e32 v14, 0xffff0000, v6
	s_waitcnt vmcnt(0)
	v_and_b32_e32 v15, 0xffff0000, v8
	v_alignbit_b32 v6, v7, v6, 16
	v_and_b32_e32 v7, 0xffff0000, v7
	v_lshlrev_b32_e32 v13, 16, v8
	v_alignbit_b32 v8, v9, v8, 16
	v_and_b32_e32 v9, 0xffff0000, v9
	v_sub_f32_e32 v17, v15, v14
	v_and_b32_e32 v6, 0xffff0000, v6
	s_delay_alu instid0(VALU_DEP_4) | instskip(NEXT) | instid1(VALU_DEP_4)
	v_and_b32_e32 v8, 0xffff0000, v8
	v_sub_f32_e32 v18, v9, v7
	s_delay_alu instid0(VALU_DEP_4) | instskip(SKIP_1) | instid1(VALU_DEP_3)
	v_fmac_f32_e32 v14, s18, v17
	v_fma_f32 v15, -v3, v17, v15
	v_fmac_f32_e32 v7, s18, v18
	v_fma_f32 v9, -v3, v18, v9
	s_delay_alu instid0(VALU_DEP_1) | instskip(SKIP_1) | instid1(VALU_DEP_1)
	v_cndmask_b32_e32 v7, v9, v7, vcc_lo
	v_sub_f32_e32 v16, v13, v12
	v_fmac_f32_e32 v12, s18, v16
	v_fma_f32 v13, -v3, v16, v13
	v_sub_f32_e32 v16, v8, v6
	s_delay_alu instid0(VALU_DEP_2) | instskip(NEXT) | instid1(VALU_DEP_2)
	v_dual_cndmask_b32 v12, v13, v12 :: v_dual_cndmask_b32 v13, v15, v14
	v_fmac_f32_e32 v6, s18, v16
	v_fma_f32 v8, -v3, v16, v8
	s_delay_alu instid0(VALU_DEP_3) | instskip(NEXT) | instid1(VALU_DEP_4)
	v_bfe_u32 v9, v12, 16, 1
	v_bfe_u32 v14, v13, 16, 1
	v_cmp_o_f32_e64 s5, v13, v13
	s_delay_alu instid0(VALU_DEP_4)
	v_cndmask_b32_e32 v6, v8, v6, vcc_lo
	v_bfe_u32 v8, v7, 16, 1
	v_add3_u32 v9, v12, v9, 0x7fff
	v_add3_u32 v14, v13, v14, 0x7fff
	v_cmp_o_f32_e64 s6, v12, v12
	v_bfe_u32 v15, v6, 16, 1
	v_add3_u32 v8, v7, v8, 0x7fff
	v_lshrrev_b32_e32 v9, 16, v9
	v_and_b32_e32 v14, 0xffff0000, v14
	s_delay_alu instid0(VALU_DEP_4) | instskip(NEXT) | instid1(VALU_DEP_4)
	v_add3_u32 v15, v6, v15, 0x7fff
	v_and_b32_e32 v8, 0xffff0000, v8
	s_delay_alu instid0(VALU_DEP_4) | instskip(NEXT) | instid1(VALU_DEP_4)
	v_cndmask_b32_e64 v9, 0x7fc0, v9, s6
	v_cndmask_b32_e64 v13, 0x7fc00000, v14, s5
	v_cmp_o_f32_e64 s5, v7, v7
	v_lshrrev_b32_e32 v12, 16, v15
	s_delay_alu instid0(VALU_DEP_2) | instskip(SKIP_2) | instid1(VALU_DEP_2)
	v_cndmask_b32_e64 v7, 0x7fc00000, v8, s5
	v_cmp_o_f32_e64 s5, v6, v6
	v_or_b32_e32 v8, v9, v13
	v_cndmask_b32_e64 v6, 0x7fc0, v12, s5
	s_delay_alu instid0(VALU_DEP_1) | instskip(NEXT) | instid1(VALU_DEP_3)
	v_or3_b32 v7, 0, v6, v7
	v_or3_b32 v6, v8, 0, 0
	global_store_b64 v[10:11], v[6:7], off
	s_and_not1_b32 exec_lo, exec_lo, s19
	s_cbranch_execnz .LBB17_3
.LBB17_4:
	s_or_b32 exec_lo, exec_lo, s7
	s_mov_b32 s2, 0
.LBB17_5:
	s_delay_alu instid0(SALU_CYCLE_1)
	s_and_not1_b32 vcc_lo, exec_lo, s2
	s_cbranch_vccnz .LBB17_25
; %bb.6:
	v_cmp_lt_i64_e64 s2, s[10:11], 1
	s_delay_alu instid0(VALU_DEP_1)
	s_and_b32 vcc_lo, exec_lo, s2
	s_cbranch_vccnz .LBB17_25
; %bb.7:
	s_load_b32 s1, s[0:1], 0xc5c
	v_dual_mov_b32 v2, 0 :: v_dual_lshlrev_b32 v1, 1, v0
	v_cmp_gt_u64_e64 s2, 0x10000, s[10:11]
	v_cmp_lt_f32_e64 s0, |s18|, 0.5
	v_sub_f32_e64 v3, 1.0, s18
	s_delay_alu instid0(VALU_DEP_4) | instskip(NEXT) | instid1(VALU_DEP_1)
	v_add_co_u32 v4, s3, s16, v1
	v_add_co_ci_u32_e64 v5, null, s17, 0, s3
	v_add_co_u32 v6, s3, s14, v1
	s_delay_alu instid0(VALU_DEP_1) | instskip(SKIP_1) | instid1(VALU_DEP_1)
	v_add_co_ci_u32_e64 v7, null, s15, 0, s3
	v_add_co_u32 v8, s3, s12, v1
	v_add_co_ci_u32_e64 v9, null, s13, 0, s3
	s_waitcnt lgkmcnt(0)
	s_and_b32 s1, s1, 0xffff
	s_and_b32 s2, s2, exec_lo
	v_mad_u64_u32 v[14:15], null, s1, 6, v[1:2]
	s_cselect_b32 s7, s11, 0
	s_cselect_b32 s6, s10, 0x10000
	s_lshl_b32 s5, s1, 2
	s_mul_i32 s3, s1, 3
	v_add_co_u32 v1, s4, s5, v1
	s_delay_alu instid0(VALU_DEP_2) | instskip(NEXT) | instid1(VALU_DEP_3)
	v_add_co_u32 v10, vcc_lo, s16, v14
	v_add_co_ci_u32_e32 v11, vcc_lo, s17, v15, vcc_lo
	v_add_co_u32 v12, vcc_lo, s14, v14
	v_add_co_ci_u32_e32 v13, vcc_lo, s15, v15, vcc_lo
	v_add_co_u32 v14, vcc_lo, s12, v14
	v_add_co_ci_u32_e64 v2, null, 0, 0, s4
	v_add_co_ci_u32_e32 v15, vcc_lo, s13, v15, vcc_lo
	v_add_co_u32 v16, s3, s3, v0
	v_add_co_u32 v18, vcc_lo, s16, v1
	v_add_co_ci_u32_e64 v17, null, 0, 0, s3
	v_add_co_u32 v22, s3, v0, s1
	v_add_co_ci_u32_e32 v19, vcc_lo, s17, v2, vcc_lo
	v_add_co_u32 v20, vcc_lo, s14, v1
	v_add_co_ci_u32_e32 v21, vcc_lo, s15, v2, vcc_lo
	v_add_co_u32 v23, vcc_lo, s12, v1
	v_lshlrev_b32_e32 v1, 1, v22
	s_lshl_b32 s2, s1, 1
	v_add_co_ci_u32_e32 v24, vcc_lo, s13, v2, vcc_lo
	v_add_co_u32 v26, s2, s2, v0
	s_delay_alu instid0(VALU_DEP_1) | instskip(SKIP_1) | instid1(VALU_DEP_1)
	v_add_co_ci_u32_e64 v27, null, 0, 0, s2
	v_add_co_u32 v28, s2, s16, v1
	v_add_co_ci_u32_e64 v29, null, s17, 0, s2
	v_add_co_u32 v30, s2, s14, v1
	s_delay_alu instid0(VALU_DEP_1)
	v_add_co_ci_u32_e64 v31, null, s15, 0, s2
	v_add_co_u32 v32, s2, s12, v1
	v_add_co_ci_u32_e64 v25, null, 0, 0, s3
	v_add_co_ci_u32_e64 v33, null, s13, 0, s2
	s_mov_b32 s14, 0
	s_lshl_b32 s15, s1, 3
	s_mov_b64 s[12:13], 0
	s_branch .LBB17_9
.LBB17_8:                               ;   in Loop: Header=BB17_9 Depth=1
	s_or_b32 exec_lo, exec_lo, s1
	v_add_co_u32 v4, vcc_lo, v4, s15
	v_add_co_ci_u32_e32 v5, vcc_lo, 0, v5, vcc_lo
	v_add_co_u32 v6, vcc_lo, v6, s15
	v_add_co_ci_u32_e32 v7, vcc_lo, 0, v7, vcc_lo
	;; [unrolled: 2-line block ×9, first 2 shown]
	s_add_u32 s12, s12, s5
	v_add_co_u32 v28, vcc_lo, v28, s15
	s_addc_u32 s13, s13, 0
	v_add_co_ci_u32_e32 v29, vcc_lo, 0, v29, vcc_lo
	v_cmp_ge_i64_e64 s1, s[12:13], s[10:11]
	v_cmp_lt_u64_e64 s2, 0xffff, s[12:13]
	v_add_co_u32 v30, vcc_lo, v30, s15
	v_add_co_ci_u32_e32 v31, vcc_lo, 0, v31, vcc_lo
	v_add_co_u32 v32, vcc_lo, v32, s15
	v_add_co_ci_u32_e32 v33, vcc_lo, 0, v33, vcc_lo
	s_or_b32 s1, s1, s2
	s_delay_alu instid0(SALU_CYCLE_1)
	s_and_b32 vcc_lo, exec_lo, s1
	s_cbranch_vccnz .LBB17_25
.LBB17_9:                               ; =>This Inner Loop Header: Depth=1
	v_add_co_u32 v1, s1, v0, s12
	s_delay_alu instid0(VALU_DEP_1) | instskip(SKIP_2) | instid1(VALU_DEP_2)
	v_add_co_ci_u32_e64 v2, null, 0, s13, s1
	s_waitcnt vmcnt(0)
	v_mov_b32_e32 v35, 0
	v_cmp_gt_u64_e32 vcc_lo, s[6:7], v[1:2]
	v_mov_b32_e32 v1, 0
	v_mov_b32_e32 v2, 0
	s_and_saveexec_b32 s2, vcc_lo
	s_cbranch_execz .LBB17_11
; %bb.10:                               ;   in Loop: Header=BB17_9 Depth=1
	v_add_co_u32 v1, s1, v4, s8
	s_delay_alu instid0(VALU_DEP_1) | instskip(SKIP_2) | instid1(VALU_DEP_1)
	v_add_co_ci_u32_e64 v2, s1, s9, v5, s1
	global_load_u16 v34, v[1:2], off
	v_add_co_u32 v1, s1, v6, s8
	v_add_co_ci_u32_e64 v2, s1, s9, v7, s1
	global_load_u16 v35, v[1:2], off
	s_waitcnt vmcnt(1)
	v_dual_mov_b32 v2, s14 :: v_dual_and_b32 v1, 0xffff, v34
.LBB17_11:                              ;   in Loop: Header=BB17_9 Depth=1
	s_or_b32 exec_lo, exec_lo, s2
	v_add_co_u32 v36, s1, v22, s12
	s_delay_alu instid0(VALU_DEP_1) | instskip(SKIP_1) | instid1(VALU_DEP_2)
	v_add_co_ci_u32_e64 v37, s1, s13, v25, s1
	v_mov_b32_e32 v34, 0
	v_cmp_gt_u64_e64 s1, s[6:7], v[36:37]
	v_mov_b32_e32 v36, 0
	s_delay_alu instid0(VALU_DEP_2)
	s_and_saveexec_b32 s3, s1
	s_cbranch_execz .LBB17_13
; %bb.12:                               ;   in Loop: Header=BB17_9 Depth=1
	v_add_co_u32 v36, s2, v28, s8
	s_delay_alu instid0(VALU_DEP_1) | instskip(SKIP_2) | instid1(VALU_DEP_1)
	v_add_co_ci_u32_e64 v37, s2, s9, v29, s2
	global_load_u16 v38, v[36:37], off
	v_add_co_u32 v36, s2, v30, s8
	v_add_co_ci_u32_e64 v37, s2, s9, v31, s2
	global_load_u16 v36, v[36:37], off
	s_waitcnt vmcnt(1)
	v_lshl_or_b32 v1, v38, 16, v1
.LBB17_13:                              ;   in Loop: Header=BB17_9 Depth=1
	s_or_b32 exec_lo, exec_lo, s3
	v_add_co_u32 v37, s2, v26, s12
	s_delay_alu instid0(VALU_DEP_1) | instskip(NEXT) | instid1(VALU_DEP_1)
	v_add_co_ci_u32_e64 v38, s2, s13, v27, s2
	v_cmp_gt_u64_e64 s2, s[6:7], v[37:38]
	s_delay_alu instid0(VALU_DEP_1)
	s_and_saveexec_b32 s4, s2
	s_cbranch_execz .LBB17_15
; %bb.14:                               ;   in Loop: Header=BB17_9 Depth=1
	v_add_co_u32 v37, s3, v18, s8
	s_delay_alu instid0(VALU_DEP_1) | instskip(SKIP_2) | instid1(VALU_DEP_1)
	v_add_co_ci_u32_e64 v38, s3, s9, v19, s3
	global_load_u16 v39, v[37:38], off
	v_add_co_u32 v37, s3, v20, s8
	v_add_co_ci_u32_e64 v38, s3, s9, v21, s3
	global_load_u16 v34, v[37:38], off
	s_waitcnt vmcnt(1)
	v_or_b32_e32 v2, v39, v2
.LBB17_15:                              ;   in Loop: Header=BB17_9 Depth=1
	s_or_b32 exec_lo, exec_lo, s4
	v_add_co_u32 v37, s3, v16, s12
	s_delay_alu instid0(VALU_DEP_1) | instskip(NEXT) | instid1(VALU_DEP_1)
	v_add_co_ci_u32_e64 v38, s3, s13, v17, s3
	v_cmp_gt_u64_e64 s3, s[6:7], v[37:38]
	v_mov_b32_e32 v37, 0
	s_delay_alu instid0(VALU_DEP_2)
	s_and_saveexec_b32 s16, s3
	s_cbranch_execnz .LBB17_20
; %bb.16:                               ;   in Loop: Header=BB17_9 Depth=1
	s_or_b32 exec_lo, exec_lo, s16
	s_and_saveexec_b32 s4, vcc_lo
	s_cbranch_execnz .LBB17_21
.LBB17_17:                              ;   in Loop: Header=BB17_9 Depth=1
	s_or_b32 exec_lo, exec_lo, s4
	s_and_saveexec_b32 s4, s1
	s_cbranch_execnz .LBB17_22
.LBB17_18:                              ;   in Loop: Header=BB17_9 Depth=1
	s_or_b32 exec_lo, exec_lo, s4
	s_and_saveexec_b32 s1, s2
	s_cbranch_execnz .LBB17_23
.LBB17_19:                              ;   in Loop: Header=BB17_9 Depth=1
	s_or_b32 exec_lo, exec_lo, s1
	s_and_saveexec_b32 s1, s3
	s_cbranch_execz .LBB17_8
	s_branch .LBB17_24
.LBB17_20:                              ;   in Loop: Header=BB17_9 Depth=1
	v_add_co_u32 v37, s4, v10, s8
	s_delay_alu instid0(VALU_DEP_1) | instskip(SKIP_3) | instid1(VALU_DEP_1)
	v_add_co_ci_u32_e64 v38, s4, s9, v11, s4
	v_mov_b32_e32 v39, 0
	global_load_d16_hi_b16 v39, v[37:38], off
	v_add_co_u32 v37, s4, v12, s8
	v_add_co_ci_u32_e64 v38, s4, s9, v13, s4
	global_load_u16 v37, v[37:38], off
	s_waitcnt vmcnt(1)
	v_or_b32_e32 v2, v39, v2
	s_or_b32 exec_lo, exec_lo, s16
	s_and_saveexec_b32 s4, vcc_lo
	s_cbranch_execz .LBB17_17
.LBB17_21:                              ;   in Loop: Header=BB17_9 Depth=1
	s_waitcnt vmcnt(0)
	v_lshlrev_b32_e32 v35, 16, v35
	v_lshlrev_b32_e32 v38, 16, v1
	s_delay_alu instid0(VALU_DEP_1) | instskip(NEXT) | instid1(VALU_DEP_1)
	v_sub_f32_e32 v39, v35, v38
	v_fmac_f32_e32 v38, s18, v39
	v_fma_f32 v35, -v3, v39, v35
	s_delay_alu instid0(VALU_DEP_1) | instskip(NEXT) | instid1(VALU_DEP_1)
	v_cndmask_b32_e64 v35, v35, v38, s0
	v_bfe_u32 v38, v35, 16, 1
	s_delay_alu instid0(VALU_DEP_1) | instskip(NEXT) | instid1(VALU_DEP_1)
	v_add3_u32 v38, v35, v38, 0x7fff
	v_lshrrev_b32_e32 v40, 16, v38
	v_add_co_u32 v38, vcc_lo, v8, s8
	v_add_co_ci_u32_e32 v39, vcc_lo, s9, v9, vcc_lo
	v_cmp_o_f32_e32 vcc_lo, v35, v35
	s_delay_alu instid0(VALU_DEP_4)
	v_cndmask_b32_e32 v35, 0x7fc0, v40, vcc_lo
	global_store_b16 v[38:39], v35, off
	s_or_b32 exec_lo, exec_lo, s4
	s_and_saveexec_b32 s4, s1
	s_cbranch_execz .LBB17_18
.LBB17_22:                              ;   in Loop: Header=BB17_9 Depth=1
	s_waitcnt vmcnt(0)
	v_and_b32_e32 v35, 0xffff0000, v1
	v_lshlrev_b32_e32 v36, 16, v36
	s_delay_alu instid0(VALU_DEP_1) | instskip(NEXT) | instid1(VALU_DEP_1)
	v_sub_f32_e32 v38, v36, v35
	v_fmac_f32_e32 v35, s18, v38
	v_fma_f32 v36, -v3, v38, v36
	s_delay_alu instid0(VALU_DEP_1) | instskip(NEXT) | instid1(VALU_DEP_1)
	v_cndmask_b32_e64 v35, v36, v35, s0
	v_bfe_u32 v36, v35, 16, 1
	v_cmp_o_f32_e32 vcc_lo, v35, v35
	s_delay_alu instid0(VALU_DEP_2) | instskip(NEXT) | instid1(VALU_DEP_1)
	v_add3_u32 v36, v35, v36, 0x7fff
	v_lshrrev_b32_e32 v36, 16, v36
	s_delay_alu instid0(VALU_DEP_1)
	v_cndmask_b32_e32 v38, 0x7fc0, v36, vcc_lo
	v_add_co_u32 v35, vcc_lo, v32, s8
	v_add_co_ci_u32_e32 v36, vcc_lo, s9, v33, vcc_lo
	global_store_b16 v[35:36], v38, off
	s_or_b32 exec_lo, exec_lo, s4
	s_and_saveexec_b32 s1, s2
	s_cbranch_execz .LBB17_19
.LBB17_23:                              ;   in Loop: Header=BB17_9 Depth=1
	v_alignbit_b32 v1, v2, v1, 16
	s_delay_alu instid0(VALU_DEP_1) | instskip(SKIP_2) | instid1(VALU_DEP_1)
	v_and_b32_e32 v1, 0xffff0000, v1
	s_waitcnt vmcnt(0)
	v_lshlrev_b32_e32 v34, 16, v34
	v_sub_f32_e32 v35, v34, v1
	s_delay_alu instid0(VALU_DEP_1) | instskip(SKIP_1) | instid1(VALU_DEP_1)
	v_fmac_f32_e32 v1, s18, v35
	v_fma_f32 v34, -v3, v35, v34
	v_cndmask_b32_e64 v1, v34, v1, s0
	s_delay_alu instid0(VALU_DEP_1) | instskip(SKIP_1) | instid1(VALU_DEP_2)
	v_bfe_u32 v34, v1, 16, 1
	v_cmp_o_f32_e32 vcc_lo, v1, v1
	v_add3_u32 v34, v1, v34, 0x7fff
	s_delay_alu instid0(VALU_DEP_1) | instskip(NEXT) | instid1(VALU_DEP_1)
	v_lshrrev_b32_e32 v34, 16, v34
	v_cndmask_b32_e32 v1, 0x7fc0, v34, vcc_lo
	v_add_co_u32 v34, vcc_lo, v23, s8
	v_add_co_ci_u32_e32 v35, vcc_lo, s9, v24, vcc_lo
	global_store_b16 v[34:35], v1, off
	s_or_b32 exec_lo, exec_lo, s1
	s_and_saveexec_b32 s1, s3
	s_cbranch_execz .LBB17_8
.LBB17_24:                              ;   in Loop: Header=BB17_9 Depth=1
	v_and_b32_e32 v1, 0xffff0000, v2
	s_waitcnt vmcnt(0)
	v_lshlrev_b32_e32 v2, 16, v37
	s_delay_alu instid0(VALU_DEP_1) | instskip(NEXT) | instid1(VALU_DEP_1)
	v_sub_f32_e32 v34, v2, v1
	v_fmac_f32_e32 v1, s18, v34
	v_fma_f32 v2, -v3, v34, v2
	s_delay_alu instid0(VALU_DEP_1) | instskip(NEXT) | instid1(VALU_DEP_1)
	v_cndmask_b32_e64 v1, v2, v1, s0
	v_bfe_u32 v2, v1, 16, 1
	v_cmp_o_f32_e32 vcc_lo, v1, v1
	s_delay_alu instid0(VALU_DEP_2) | instskip(NEXT) | instid1(VALU_DEP_1)
	v_add3_u32 v2, v1, v2, 0x7fff
	v_lshrrev_b32_e32 v2, 16, v2
	s_delay_alu instid0(VALU_DEP_1)
	v_cndmask_b32_e32 v34, 0x7fc0, v2, vcc_lo
	v_add_co_u32 v1, vcc_lo, v14, s8
	v_add_co_ci_u32_e32 v2, vcc_lo, s9, v15, vcc_lo
	global_store_b16 v[1:2], v34, off
	s_branch .LBB17_8
.LBB17_25:
	s_nop 0
	s_sendmsg sendmsg(MSG_DEALLOC_VGPRS)
	s_endpgm
	.section	.rodata,"a",@progbits
	.p2align	6, 0x0
	.amdhsa_kernel _ZN2at6native12_GLOBAL__N_125multi_tensor_apply_kernelINS1_18TensorListMetadataILi3EEENS1_22TernaryOpScalarFunctorIN3c108BFloat16ELi3ELi2ELi2EEEJNS0_11LerpFunctorIfEEfEEEvT_T0_DpT1_
		.amdhsa_group_segment_fixed_size 0
		.amdhsa_private_segment_fixed_size 0
		.amdhsa_kernarg_size 3408
		.amdhsa_user_sgpr_count 15
		.amdhsa_user_sgpr_dispatch_ptr 0
		.amdhsa_user_sgpr_queue_ptr 0
		.amdhsa_user_sgpr_kernarg_segment_ptr 1
		.amdhsa_user_sgpr_dispatch_id 0
		.amdhsa_user_sgpr_private_segment_size 0
		.amdhsa_wavefront_size32 1
		.amdhsa_uses_dynamic_stack 0
		.amdhsa_enable_private_segment 0
		.amdhsa_system_sgpr_workgroup_id_x 1
		.amdhsa_system_sgpr_workgroup_id_y 0
		.amdhsa_system_sgpr_workgroup_id_z 0
		.amdhsa_system_sgpr_workgroup_info 0
		.amdhsa_system_vgpr_workitem_id 0
		.amdhsa_next_free_vgpr 41
		.amdhsa_next_free_sgpr 22
		.amdhsa_reserve_vcc 1
		.amdhsa_float_round_mode_32 0
		.amdhsa_float_round_mode_16_64 0
		.amdhsa_float_denorm_mode_32 3
		.amdhsa_float_denorm_mode_16_64 3
		.amdhsa_dx10_clamp 1
		.amdhsa_ieee_mode 1
		.amdhsa_fp16_overflow 0
		.amdhsa_workgroup_processor_mode 1
		.amdhsa_memory_ordered 1
		.amdhsa_forward_progress 0
		.amdhsa_shared_vgpr_count 0
		.amdhsa_exception_fp_ieee_invalid_op 0
		.amdhsa_exception_fp_denorm_src 0
		.amdhsa_exception_fp_ieee_div_zero 0
		.amdhsa_exception_fp_ieee_overflow 0
		.amdhsa_exception_fp_ieee_underflow 0
		.amdhsa_exception_fp_ieee_inexact 0
		.amdhsa_exception_int_div_zero 0
	.end_amdhsa_kernel
	.section	.text._ZN2at6native12_GLOBAL__N_125multi_tensor_apply_kernelINS1_18TensorListMetadataILi3EEENS1_22TernaryOpScalarFunctorIN3c108BFloat16ELi3ELi2ELi2EEEJNS0_11LerpFunctorIfEEfEEEvT_T0_DpT1_,"axG",@progbits,_ZN2at6native12_GLOBAL__N_125multi_tensor_apply_kernelINS1_18TensorListMetadataILi3EEENS1_22TernaryOpScalarFunctorIN3c108BFloat16ELi3ELi2ELi2EEEJNS0_11LerpFunctorIfEEfEEEvT_T0_DpT1_,comdat
.Lfunc_end17:
	.size	_ZN2at6native12_GLOBAL__N_125multi_tensor_apply_kernelINS1_18TensorListMetadataILi3EEENS1_22TernaryOpScalarFunctorIN3c108BFloat16ELi3ELi2ELi2EEEJNS0_11LerpFunctorIfEEfEEEvT_T0_DpT1_, .Lfunc_end17-_ZN2at6native12_GLOBAL__N_125multi_tensor_apply_kernelINS1_18TensorListMetadataILi3EEENS1_22TernaryOpScalarFunctorIN3c108BFloat16ELi3ELi2ELi2EEEJNS0_11LerpFunctorIfEEfEEEvT_T0_DpT1_
                                        ; -- End function
	.section	.AMDGPU.csdata,"",@progbits
; Kernel info:
; codeLenInByte = 2492
; NumSgprs: 24
; NumVgprs: 41
; ScratchSize: 0
; MemoryBound: 0
; FloatMode: 240
; IeeeMode: 1
; LDSByteSize: 0 bytes/workgroup (compile time only)
; SGPRBlocks: 2
; VGPRBlocks: 5
; NumSGPRsForWavesPerEU: 24
; NumVGPRsForWavesPerEU: 41
; Occupancy: 16
; WaveLimiterHint : 0
; COMPUTE_PGM_RSRC2:SCRATCH_EN: 0
; COMPUTE_PGM_RSRC2:USER_SGPR: 15
; COMPUTE_PGM_RSRC2:TRAP_HANDLER: 0
; COMPUTE_PGM_RSRC2:TGID_X_EN: 1
; COMPUTE_PGM_RSRC2:TGID_Y_EN: 0
; COMPUTE_PGM_RSRC2:TGID_Z_EN: 0
; COMPUTE_PGM_RSRC2:TIDIG_COMP_CNT: 0
	.section	.text._ZN2at6native12_GLOBAL__N_125multi_tensor_apply_kernelINS1_18TensorListMetadataILi2EEENS1_22TernaryOpScalarFunctorIdLi2ELi2ELi0EEEJNS0_11LerpFunctorIdEEdEEEvT_T0_DpT1_,"axG",@progbits,_ZN2at6native12_GLOBAL__N_125multi_tensor_apply_kernelINS1_18TensorListMetadataILi2EEENS1_22TernaryOpScalarFunctorIdLi2ELi2ELi0EEEJNS0_11LerpFunctorIdEEdEEEvT_T0_DpT1_,comdat
	.globl	_ZN2at6native12_GLOBAL__N_125multi_tensor_apply_kernelINS1_18TensorListMetadataILi2EEENS1_22TernaryOpScalarFunctorIdLi2ELi2ELi0EEEJNS0_11LerpFunctorIdEEdEEEvT_T0_DpT1_ ; -- Begin function _ZN2at6native12_GLOBAL__N_125multi_tensor_apply_kernelINS1_18TensorListMetadataILi2EEENS1_22TernaryOpScalarFunctorIdLi2ELi2ELi0EEEJNS0_11LerpFunctorIdEEdEEEvT_T0_DpT1_
	.p2align	8
	.type	_ZN2at6native12_GLOBAL__N_125multi_tensor_apply_kernelINS1_18TensorListMetadataILi2EEENS1_22TernaryOpScalarFunctorIdLi2ELi2ELi0EEEJNS0_11LerpFunctorIdEEdEEEvT_T0_DpT1_,@function
_ZN2at6native12_GLOBAL__N_125multi_tensor_apply_kernelINS1_18TensorListMetadataILi2EEENS1_22TernaryOpScalarFunctorIdLi2ELi2ELi0EEEJNS0_11LerpFunctorIdEEdEEEvT_T0_DpT1_: ; @_ZN2at6native12_GLOBAL__N_125multi_tensor_apply_kernelINS1_18TensorListMetadataILi2EEENS1_22TernaryOpScalarFunctorIdLi2ELi2ELi0EEEJNS0_11LerpFunctorIdEEdEEEvT_T0_DpT1_
; %bb.0:
	v_mov_b32_e32 v1, s15
	s_add_u32 s2, s0, s15
	s_mul_hi_u32 s3, s15, 3
	s_mul_i32 s15, s15, 3
	s_addc_u32 s4, s1, 0
	global_load_u8 v1, v1, s[0:1] offset:1536
	s_add_u32 s2, s2, s15
	s_addc_u32 s3, s4, s3
	s_mov_b32 s21, 0
	s_load_b32 s8, s[2:3], 0x740
	s_mov_b32 s23, s21
	s_mov_b32 s25, s21
	s_waitcnt lgkmcnt(0)
	s_ashr_i32 s9, s8, 31
	s_delay_alu instid0(SALU_CYCLE_1) | instskip(SKIP_2) | instid1(VALU_DEP_1)
	s_lshl_b64 s[6:7], s[8:9], 19
	s_waitcnt vmcnt(0)
	v_readfirstlane_b32 s2, v1
	s_lshl_b32 s2, s2, 3
	s_clause 0x3
	s_load_b64 s[12:13], s[0:1], s2 offset:0x0
	s_load_b64 s[14:15], s[0:1], s2 offset:0x200
	;; [unrolled: 1-line block ×3, first 2 shown]
	s_load_b64 s[4:5], s[0:1], 0xc50
	s_mov_b32 s2, -1
	s_waitcnt lgkmcnt(0)
	s_add_u32 s3, s12, s6
	s_addc_u32 s10, s13, s7
	s_and_b32 s20, s3, 31
	s_add_u32 s11, s14, s6
	s_addc_u32 s16, s15, s7
	s_and_b32 s22, s18, 3
	s_and_b32 s24, s11, 31
	s_or_b64 s[20:21], s[20:21], s[22:23]
	s_lshl_b64 s[8:9], s[8:9], 16
	s_or_b64 s[20:21], s[24:25], s[20:21]
	s_sub_u32 s8, s18, s8
	s_subb_u32 s9, s19, s9
	s_cmp_eq_u64 s[20:21], 0
	s_cbranch_scc0 .LBB18_21
; %bb.1:
	v_dual_mov_b32 v18, 0 :: v_dual_lshlrev_b32 v17, 2, v0
	s_mov_b32 s17, exec_lo
	s_delay_alu instid0(VALU_DEP_1)
	v_cmpx_gt_i64_e64 s[8:9], v[17:18]
	s_cbranch_execz .LBB18_20
; %bb.2:
	v_add_f64 v[19:20], -s[4:5], 1.0
	v_cmp_nlt_f64_e64 s18, |s[4:5]|, 0.5
	s_load_b32 s2, s[0:1], 0xc64
	v_lshlrev_b32_e32 v25, 5, v0
	s_mov_b32 s19, 0
	s_waitcnt lgkmcnt(0)
	s_and_b32 s2, s2, 0xffff
	s_delay_alu instid0(SALU_CYCLE_1)
	v_add_lshl_u32 v17, v0, s2, 2
	s_lshl_b32 s20, s2, 2
	s_lshl_b32 s21, s2, 5
	s_branch .LBB18_4
.LBB18_3:                               ;   in Loop: Header=BB18_4 Depth=1
	v_cmp_le_i64_e32 vcc_lo, s[8:9], v[17:18]
	v_cmp_lt_u64_e64 s2, 0xffff, v[17:18]
	s_clause 0x1
	global_store_b128 v[21:22], v[1:4], off
	global_store_b128 v[21:22], v[9:12], off offset:16
	s_or_b32 s2, vcc_lo, s2
	s_add_u32 s3, s3, s21
	v_add_co_u32 v17, vcc_lo, v17, s20
	s_addc_u32 s10, s10, 0
	s_add_u32 s11, s11, s21
	v_add_co_ci_u32_e32 v18, vcc_lo, 0, v18, vcc_lo
	s_addc_u32 s16, s16, 0
	s_and_b32 s2, exec_lo, s2
	s_delay_alu instid0(SALU_CYCLE_1) | instskip(NEXT) | instid1(SALU_CYCLE_1)
	s_or_b32 s19, s2, s19
	s_and_not1_b32 exec_lo, exec_lo, s19
	s_cbranch_execz .LBB18_20
.LBB18_4:                               ; =>This Inner Loop Header: Depth=1
	v_add_co_u32 v21, s2, s3, v25
	s_delay_alu instid0(VALU_DEP_1) | instskip(SKIP_1) | instid1(VALU_DEP_1)
	v_add_co_ci_u32_e64 v22, null, s10, 0, s2
	v_add_co_u32 v9, s2, s11, v25
	v_add_co_ci_u32_e64 v10, null, s16, 0, s2
	global_load_b128 v[13:16], v[21:22], off
	global_load_b128 v[1:4], v[9:10], off
	global_load_b128 v[5:8], v[21:22], off offset:16
	global_load_b128 v[9:12], v[9:10], off offset:16
	s_and_b32 vcc_lo, exec_lo, s18
	s_waitcnt vmcnt(2)
	v_add_f64 v[23:24], v[1:2], -v[13:14]
	s_cbranch_vccz .LBB18_6
; %bb.5:                                ;   in Loop: Header=BB18_4 Depth=1
	s_delay_alu instid0(VALU_DEP_1)
	v_fma_f64 v[1:2], -v[19:20], v[23:24], v[1:2]
	s_cbranch_execz .LBB18_7
	s_branch .LBB18_8
.LBB18_6:                               ;   in Loop: Header=BB18_4 Depth=1
                                        ; implicit-def: $vgpr1_vgpr2
.LBB18_7:                               ;   in Loop: Header=BB18_4 Depth=1
	s_delay_alu instid0(VALU_DEP_1)
	v_fma_f64 v[1:2], v[23:24], s[4:5], v[13:14]
.LBB18_8:                               ;   in Loop: Header=BB18_4 Depth=1
	v_add_f64 v[13:14], v[3:4], -v[15:16]
	s_and_not1_b32 vcc_lo, exec_lo, s18
	s_cbranch_vccnz .LBB18_10
; %bb.9:                                ;   in Loop: Header=BB18_4 Depth=1
	s_delay_alu instid0(VALU_DEP_1)
	v_fma_f64 v[3:4], -v[19:20], v[13:14], v[3:4]
	s_cbranch_execz .LBB18_11
	s_branch .LBB18_12
.LBB18_10:                              ;   in Loop: Header=BB18_4 Depth=1
.LBB18_11:                              ;   in Loop: Header=BB18_4 Depth=1
	s_delay_alu instid0(VALU_DEP_1)
	v_fma_f64 v[3:4], v[13:14], s[4:5], v[15:16]
.LBB18_12:                              ;   in Loop: Header=BB18_4 Depth=1
	s_waitcnt vmcnt(0)
	v_add_f64 v[13:14], v[9:10], -v[5:6]
	s_and_not1_b32 vcc_lo, exec_lo, s18
	s_cbranch_vccnz .LBB18_14
; %bb.13:                               ;   in Loop: Header=BB18_4 Depth=1
	s_delay_alu instid0(VALU_DEP_1)
	v_fma_f64 v[9:10], -v[19:20], v[13:14], v[9:10]
	s_cbranch_execz .LBB18_15
	s_branch .LBB18_16
.LBB18_14:                              ;   in Loop: Header=BB18_4 Depth=1
                                        ; implicit-def: $vgpr9_vgpr10
.LBB18_15:                              ;   in Loop: Header=BB18_4 Depth=1
	s_delay_alu instid0(VALU_DEP_1)
	v_fma_f64 v[9:10], v[13:14], s[4:5], v[5:6]
.LBB18_16:                              ;   in Loop: Header=BB18_4 Depth=1
	v_add_f64 v[5:6], v[11:12], -v[7:8]
	s_and_not1_b32 vcc_lo, exec_lo, s18
	s_cbranch_vccnz .LBB18_18
; %bb.17:                               ;   in Loop: Header=BB18_4 Depth=1
	s_delay_alu instid0(VALU_DEP_1)
	v_fma_f64 v[11:12], -v[19:20], v[5:6], v[11:12]
	s_cbranch_execnz .LBB18_3
	s_branch .LBB18_19
.LBB18_18:                              ;   in Loop: Header=BB18_4 Depth=1
.LBB18_19:                              ;   in Loop: Header=BB18_4 Depth=1
	s_delay_alu instid0(VALU_DEP_1)
	v_fma_f64 v[11:12], v[5:6], s[4:5], v[7:8]
	s_branch .LBB18_3
.LBB18_20:
	s_or_b32 exec_lo, exec_lo, s17
	s_mov_b32 s2, 0
.LBB18_21:
	s_delay_alu instid0(SALU_CYCLE_1)
	s_and_not1_b32 vcc_lo, exec_lo, s2
	s_cbranch_vccnz .LBB18_57
; %bb.22:
	v_cmp_lt_i64_e64 s2, s[8:9], 1
	s_delay_alu instid0(VALU_DEP_1)
	s_and_b32 vcc_lo, exec_lo, s2
	s_cbranch_vccnz .LBB18_57
; %bb.23:
	s_load_b32 s0, s[0:1], 0xc64
	v_cmp_nlt_f64_e64 s16, |s[4:5]|, 0.5
	v_add_f64 v[1:2], -s[4:5], 1.0
	v_dual_mov_b32 v4, 0 :: v_dual_lshlrev_b32 v3, 3, v0
	v_cmp_gt_u64_e64 s1, 0x10000, s[8:9]
	s_delay_alu instid0(VALU_DEP_2) | instskip(NEXT) | instid1(VALU_DEP_1)
	v_add_co_u32 v21, s2, s12, v3
	v_add_co_ci_u32_e64 v22, null, s13, 0, s2
	v_add_co_u32 v23, s2, s14, v3
	s_delay_alu instid0(VALU_DEP_1)
	v_add_co_ci_u32_e64 v24, null, s15, 0, s2
	s_waitcnt lgkmcnt(0)
	s_and_b32 s0, s0, 0xffff
	s_and_b32 s1, s1, exec_lo
	v_mad_u64_u32 v[5:6], null, s0, 24, v[3:4]
	s_cselect_b32 s11, s9, 0
	s_cselect_b32 s10, s8, 0x10000
	s_lshl_b32 s3, s0, 4
	s_mul_i32 s2, s0, 3
	v_add_co_u32 v3, s3, s3, v3
	s_delay_alu instid0(VALU_DEP_2) | instskip(NEXT) | instid1(VALU_DEP_3)
	v_add_co_u32 v25, vcc_lo, s12, v5
	v_add_co_ci_u32_e32 v26, vcc_lo, s13, v6, vcc_lo
	v_add_co_u32 v29, s2, s2, v0
	v_add_co_u32 v27, vcc_lo, s14, v5
	v_add_co_ci_u32_e64 v4, null, 0, 0, s3
	v_add_co_ci_u32_e64 v30, null, 0, 0, s2
	v_add_co_u32 v33, s2, v0, s0
	v_add_co_ci_u32_e32 v28, vcc_lo, s15, v6, vcc_lo
	v_add_co_u32 v31, vcc_lo, s12, v3
	v_add_co_ci_u32_e32 v32, vcc_lo, s13, v4, vcc_lo
	v_add_co_u32 v34, vcc_lo, s14, v3
	v_lshlrev_b32_e32 v3, 3, v33
	s_lshl_b32 s1, s0, 1
	v_add_co_ci_u32_e32 v35, vcc_lo, s15, v4, vcc_lo
	v_add_co_u32 v37, s1, s1, v0
	s_delay_alu instid0(VALU_DEP_1) | instskip(SKIP_1) | instid1(VALU_DEP_1)
	v_add_co_ci_u32_e64 v38, null, 0, 0, s1
	v_add_co_u32 v39, s1, s12, v3
	v_add_co_ci_u32_e64 v40, null, s13, 0, s1
	v_add_co_u32 v41, s1, s14, v3
	v_add_co_ci_u32_e64 v36, null, 0, 0, s2
	v_add_co_ci_u32_e64 v42, null, s15, 0, s1
	s_lshl_b32 s14, s0, 2
	s_lshl_b32 s15, s0, 5
	s_mov_b64 s[12:13], 0
	s_branch .LBB18_25
.LBB18_24:                              ;   in Loop: Header=BB18_25 Depth=1
	s_or_b32 exec_lo, exec_lo, s0
	v_add_co_u32 v21, vcc_lo, v21, s15
	v_add_co_ci_u32_e32 v22, vcc_lo, 0, v22, vcc_lo
	v_add_co_u32 v23, vcc_lo, v23, s15
	v_add_co_ci_u32_e32 v24, vcc_lo, 0, v24, vcc_lo
	;; [unrolled: 2-line block ×5, first 2 shown]
	s_add_u32 s12, s12, s14
	v_add_co_u32 v34, vcc_lo, v34, s15
	s_addc_u32 s13, s13, 0
	v_add_co_ci_u32_e32 v35, vcc_lo, 0, v35, vcc_lo
	v_cmp_ge_i64_e64 s0, s[12:13], s[8:9]
	v_cmp_lt_u64_e64 s1, 0xffff, s[12:13]
	v_add_co_u32 v39, vcc_lo, v39, s15
	v_add_co_ci_u32_e32 v40, vcc_lo, 0, v40, vcc_lo
	v_add_co_u32 v41, vcc_lo, v41, s15
	v_add_co_ci_u32_e32 v42, vcc_lo, 0, v42, vcc_lo
	s_or_b32 s0, s0, s1
	s_delay_alu instid0(SALU_CYCLE_1)
	s_and_b32 vcc_lo, exec_lo, s0
	s_cbranch_vccnz .LBB18_57
.LBB18_25:                              ; =>This Inner Loop Header: Depth=1
	v_add_co_u32 v5, s0, v0, s12
	s_delay_alu instid0(VALU_DEP_1) | instskip(SKIP_2) | instid1(VALU_DEP_3)
	v_add_co_ci_u32_e64 v6, null, 0, s13, s0
	v_mov_b32_e32 v3, 0
	v_mov_b32_e32 v4, 0
	v_cmp_gt_u64_e64 s0, s[10:11], v[5:6]
	s_delay_alu instid0(VALU_DEP_2) | instskip(SKIP_1) | instid1(VALU_DEP_3)
	v_dual_mov_b32 v8, v4 :: v_dual_mov_b32 v7, v3
	v_dual_mov_b32 v12, v4 :: v_dual_mov_b32 v11, v3
	s_and_saveexec_b32 s1, s0
	s_cbranch_execz .LBB18_27
; %bb.26:                               ;   in Loop: Header=BB18_25 Depth=1
	v_add_co_u32 v5, vcc_lo, v21, s6
	v_add_co_ci_u32_e32 v6, vcc_lo, s7, v22, vcc_lo
	v_add_co_u32 v9, vcc_lo, v23, s6
	v_add_co_ci_u32_e32 v10, vcc_lo, s7, v24, vcc_lo
	global_load_b64 v[7:8], v[5:6], off
	global_load_b64 v[11:12], v[9:10], off
.LBB18_27:                              ;   in Loop: Header=BB18_25 Depth=1
	s_or_b32 exec_lo, exec_lo, s1
	v_add_co_u32 v5, vcc_lo, v33, s12
	v_add_co_ci_u32_e32 v6, vcc_lo, s13, v36, vcc_lo
	v_dual_mov_b32 v14, v4 :: v_dual_mov_b32 v13, v3
	s_delay_alu instid0(VALU_DEP_2) | instskip(NEXT) | instid1(VALU_DEP_1)
	v_cmp_gt_u64_e64 s1, s[10:11], v[5:6]
	s_and_saveexec_b32 s2, s1
	s_cbranch_execz .LBB18_29
; %bb.28:                               ;   in Loop: Header=BB18_25 Depth=1
	v_add_co_u32 v3, vcc_lo, v39, s6
	v_add_co_ci_u32_e32 v4, vcc_lo, s7, v40, vcc_lo
	v_add_co_u32 v5, vcc_lo, v41, s6
	v_add_co_ci_u32_e32 v6, vcc_lo, s7, v42, vcc_lo
	global_load_b64 v[3:4], v[3:4], off
	global_load_b64 v[13:14], v[5:6], off
.LBB18_29:                              ;   in Loop: Header=BB18_25 Depth=1
	s_or_b32 exec_lo, exec_lo, s2
	v_add_co_u32 v9, vcc_lo, v37, s12
	v_add_co_ci_u32_e32 v10, vcc_lo, s13, v38, vcc_lo
	v_mov_b32_e32 v5, 0
	v_mov_b32_e32 v6, 0
	s_delay_alu instid0(VALU_DEP_3) | instskip(NEXT) | instid1(VALU_DEP_2)
	v_cmp_gt_u64_e64 s2, s[10:11], v[9:10]
	v_dual_mov_b32 v10, v6 :: v_dual_mov_b32 v9, v5
	v_dual_mov_b32 v16, v6 :: v_dual_mov_b32 v15, v5
	s_delay_alu instid0(VALU_DEP_3)
	s_and_saveexec_b32 s3, s2
	s_cbranch_execz .LBB18_31
; %bb.30:                               ;   in Loop: Header=BB18_25 Depth=1
	v_add_co_u32 v9, vcc_lo, v31, s6
	v_add_co_ci_u32_e32 v10, vcc_lo, s7, v32, vcc_lo
	v_add_co_u32 v15, vcc_lo, v34, s6
	v_add_co_ci_u32_e32 v16, vcc_lo, s7, v35, vcc_lo
	global_load_b64 v[9:10], v[9:10], off
	global_load_b64 v[15:16], v[15:16], off
.LBB18_31:                              ;   in Loop: Header=BB18_25 Depth=1
	s_or_b32 exec_lo, exec_lo, s3
	v_add_co_u32 v17, vcc_lo, v29, s12
	v_add_co_ci_u32_e32 v18, vcc_lo, s13, v30, vcc_lo
	s_delay_alu instid0(VALU_DEP_1) | instskip(SKIP_1) | instid1(VALU_DEP_2)
	v_cmp_gt_u64_e64 s3, s[10:11], v[17:18]
	v_dual_mov_b32 v18, v6 :: v_dual_mov_b32 v17, v5
	s_and_saveexec_b32 s17, s3
	s_cbranch_execz .LBB18_33
; %bb.32:                               ;   in Loop: Header=BB18_25 Depth=1
	v_add_co_u32 v5, vcc_lo, v25, s6
	v_add_co_ci_u32_e32 v6, vcc_lo, s7, v26, vcc_lo
	v_add_co_u32 v17, vcc_lo, v27, s6
	v_add_co_ci_u32_e32 v18, vcc_lo, s7, v28, vcc_lo
	global_load_b64 v[5:6], v[5:6], off
	global_load_b64 v[17:18], v[17:18], off
.LBB18_33:                              ;   in Loop: Header=BB18_25 Depth=1
	s_or_b32 exec_lo, exec_lo, s17
	s_waitcnt vmcnt(0)
	v_add_f64 v[19:20], v[11:12], -v[7:8]
	s_and_b32 vcc_lo, exec_lo, s16
	s_cbranch_vccz .LBB18_49
; %bb.34:                               ;   in Loop: Header=BB18_25 Depth=1
	s_delay_alu instid0(VALU_DEP_1)
	v_fma_f64 v[11:12], -v[1:2], v[19:20], v[11:12]
	s_cbranch_execnz .LBB18_36
.LBB18_35:                              ;   in Loop: Header=BB18_25 Depth=1
	s_delay_alu instid0(VALU_DEP_1)
	v_fma_f64 v[11:12], v[19:20], s[4:5], v[7:8]
.LBB18_36:                              ;   in Loop: Header=BB18_25 Depth=1
	v_add_f64 v[19:20], v[13:14], -v[3:4]
	s_and_not1_b32 vcc_lo, exec_lo, s16
	s_cbranch_vccnz .LBB18_50
; %bb.37:                               ;   in Loop: Header=BB18_25 Depth=1
	s_delay_alu instid0(VALU_DEP_1)
	v_fma_f64 v[7:8], -v[1:2], v[19:20], v[13:14]
	s_cbranch_execnz .LBB18_39
.LBB18_38:                              ;   in Loop: Header=BB18_25 Depth=1
	s_delay_alu instid0(VALU_DEP_1)
	v_fma_f64 v[7:8], v[19:20], s[4:5], v[3:4]
.LBB18_39:                              ;   in Loop: Header=BB18_25 Depth=1
	v_add_f64 v[13:14], v[15:16], -v[9:10]
	s_and_not1_b32 vcc_lo, exec_lo, s16
	s_cbranch_vccnz .LBB18_51
; %bb.40:                               ;   in Loop: Header=BB18_25 Depth=1
	s_delay_alu instid0(VALU_DEP_1)
	v_fma_f64 v[3:4], -v[1:2], v[13:14], v[15:16]
	s_cbranch_execnz .LBB18_42
.LBB18_41:                              ;   in Loop: Header=BB18_25 Depth=1
	s_delay_alu instid0(VALU_DEP_1)
	v_fma_f64 v[3:4], v[13:14], s[4:5], v[9:10]
.LBB18_42:                              ;   in Loop: Header=BB18_25 Depth=1
	v_add_f64 v[13:14], v[17:18], -v[5:6]
	s_and_not1_b32 vcc_lo, exec_lo, s16
	s_cbranch_vccnz .LBB18_52
; %bb.43:                               ;   in Loop: Header=BB18_25 Depth=1
	s_delay_alu instid0(VALU_DEP_1)
	v_fma_f64 v[9:10], -v[1:2], v[13:14], v[17:18]
	s_cbranch_execnz .LBB18_45
.LBB18_44:                              ;   in Loop: Header=BB18_25 Depth=1
	s_delay_alu instid0(VALU_DEP_1)
	v_fma_f64 v[9:10], v[13:14], s[4:5], v[5:6]
.LBB18_45:                              ;   in Loop: Header=BB18_25 Depth=1
	s_and_saveexec_b32 s17, s0
	s_delay_alu instid0(SALU_CYCLE_1)
	s_xor_b32 s0, exec_lo, s17
	s_cbranch_execnz .LBB18_53
; %bb.46:                               ;   in Loop: Header=BB18_25 Depth=1
	s_or_b32 exec_lo, exec_lo, s0
	s_and_saveexec_b32 s0, s1
	s_cbranch_execnz .LBB18_54
.LBB18_47:                              ;   in Loop: Header=BB18_25 Depth=1
	s_or_b32 exec_lo, exec_lo, s0
	s_and_saveexec_b32 s0, s2
	s_cbranch_execnz .LBB18_55
.LBB18_48:                              ;   in Loop: Header=BB18_25 Depth=1
	s_or_b32 exec_lo, exec_lo, s0
	s_and_saveexec_b32 s0, s3
	s_cbranch_execz .LBB18_24
	s_branch .LBB18_56
.LBB18_49:                              ;   in Loop: Header=BB18_25 Depth=1
                                        ; implicit-def: $vgpr11_vgpr12
	s_branch .LBB18_35
.LBB18_50:                              ;   in Loop: Header=BB18_25 Depth=1
                                        ; implicit-def: $vgpr7_vgpr8
	s_branch .LBB18_38
.LBB18_51:                              ;   in Loop: Header=BB18_25 Depth=1
                                        ; implicit-def: $vgpr3_vgpr4
	s_branch .LBB18_41
.LBB18_52:                              ;   in Loop: Header=BB18_25 Depth=1
                                        ; implicit-def: $vgpr9_vgpr10
	s_branch .LBB18_44
.LBB18_53:                              ;   in Loop: Header=BB18_25 Depth=1
	v_add_co_u32 v5, vcc_lo, v21, s6
	v_add_co_ci_u32_e32 v6, vcc_lo, s7, v22, vcc_lo
	global_store_b64 v[5:6], v[11:12], off
	s_or_b32 exec_lo, exec_lo, s0
	s_and_saveexec_b32 s0, s1
	s_cbranch_execz .LBB18_47
.LBB18_54:                              ;   in Loop: Header=BB18_25 Depth=1
	v_add_co_u32 v5, vcc_lo, v39, s6
	v_add_co_ci_u32_e32 v6, vcc_lo, s7, v40, vcc_lo
	global_store_b64 v[5:6], v[7:8], off
	s_or_b32 exec_lo, exec_lo, s0
	s_and_saveexec_b32 s0, s2
	s_cbranch_execz .LBB18_48
.LBB18_55:                              ;   in Loop: Header=BB18_25 Depth=1
	v_add_co_u32 v5, vcc_lo, v31, s6
	v_add_co_ci_u32_e32 v6, vcc_lo, s7, v32, vcc_lo
	global_store_b64 v[5:6], v[3:4], off
	s_or_b32 exec_lo, exec_lo, s0
	s_and_saveexec_b32 s0, s3
	s_cbranch_execz .LBB18_24
.LBB18_56:                              ;   in Loop: Header=BB18_25 Depth=1
	v_add_co_u32 v3, vcc_lo, v25, s6
	v_add_co_ci_u32_e32 v4, vcc_lo, s7, v26, vcc_lo
	global_store_b64 v[3:4], v[9:10], off
	s_branch .LBB18_24
.LBB18_57:
	s_nop 0
	s_sendmsg sendmsg(MSG_DEALLOC_VGPRS)
	s_endpgm
	.section	.rodata,"a",@progbits
	.p2align	6, 0x0
	.amdhsa_kernel _ZN2at6native12_GLOBAL__N_125multi_tensor_apply_kernelINS1_18TensorListMetadataILi2EEENS1_22TernaryOpScalarFunctorIdLi2ELi2ELi0EEEJNS0_11LerpFunctorIdEEdEEEvT_T0_DpT1_
		.amdhsa_group_segment_fixed_size 0
		.amdhsa_private_segment_fixed_size 0
		.amdhsa_kernarg_size 3416
		.amdhsa_user_sgpr_count 15
		.amdhsa_user_sgpr_dispatch_ptr 0
		.amdhsa_user_sgpr_queue_ptr 0
		.amdhsa_user_sgpr_kernarg_segment_ptr 1
		.amdhsa_user_sgpr_dispatch_id 0
		.amdhsa_user_sgpr_private_segment_size 0
		.amdhsa_wavefront_size32 1
		.amdhsa_uses_dynamic_stack 0
		.amdhsa_enable_private_segment 0
		.amdhsa_system_sgpr_workgroup_id_x 1
		.amdhsa_system_sgpr_workgroup_id_y 0
		.amdhsa_system_sgpr_workgroup_id_z 0
		.amdhsa_system_sgpr_workgroup_info 0
		.amdhsa_system_vgpr_workitem_id 0
		.amdhsa_next_free_vgpr 43
		.amdhsa_next_free_sgpr 26
		.amdhsa_reserve_vcc 1
		.amdhsa_float_round_mode_32 0
		.amdhsa_float_round_mode_16_64 0
		.amdhsa_float_denorm_mode_32 3
		.amdhsa_float_denorm_mode_16_64 3
		.amdhsa_dx10_clamp 1
		.amdhsa_ieee_mode 1
		.amdhsa_fp16_overflow 0
		.amdhsa_workgroup_processor_mode 1
		.amdhsa_memory_ordered 1
		.amdhsa_forward_progress 0
		.amdhsa_shared_vgpr_count 0
		.amdhsa_exception_fp_ieee_invalid_op 0
		.amdhsa_exception_fp_denorm_src 0
		.amdhsa_exception_fp_ieee_div_zero 0
		.amdhsa_exception_fp_ieee_overflow 0
		.amdhsa_exception_fp_ieee_underflow 0
		.amdhsa_exception_fp_ieee_inexact 0
		.amdhsa_exception_int_div_zero 0
	.end_amdhsa_kernel
	.section	.text._ZN2at6native12_GLOBAL__N_125multi_tensor_apply_kernelINS1_18TensorListMetadataILi2EEENS1_22TernaryOpScalarFunctorIdLi2ELi2ELi0EEEJNS0_11LerpFunctorIdEEdEEEvT_T0_DpT1_,"axG",@progbits,_ZN2at6native12_GLOBAL__N_125multi_tensor_apply_kernelINS1_18TensorListMetadataILi2EEENS1_22TernaryOpScalarFunctorIdLi2ELi2ELi0EEEJNS0_11LerpFunctorIdEEdEEEvT_T0_DpT1_,comdat
.Lfunc_end18:
	.size	_ZN2at6native12_GLOBAL__N_125multi_tensor_apply_kernelINS1_18TensorListMetadataILi2EEENS1_22TernaryOpScalarFunctorIdLi2ELi2ELi0EEEJNS0_11LerpFunctorIdEEdEEEvT_T0_DpT1_, .Lfunc_end18-_ZN2at6native12_GLOBAL__N_125multi_tensor_apply_kernelINS1_18TensorListMetadataILi2EEENS1_22TernaryOpScalarFunctorIdLi2ELi2ELi0EEEJNS0_11LerpFunctorIdEEdEEEvT_T0_DpT1_
                                        ; -- End function
	.section	.AMDGPU.csdata,"",@progbits
; Kernel info:
; codeLenInByte = 1892
; NumSgprs: 28
; NumVgprs: 43
; ScratchSize: 0
; MemoryBound: 1
; FloatMode: 240
; IeeeMode: 1
; LDSByteSize: 0 bytes/workgroup (compile time only)
; SGPRBlocks: 3
; VGPRBlocks: 5
; NumSGPRsForWavesPerEU: 28
; NumVGPRsForWavesPerEU: 43
; Occupancy: 16
; WaveLimiterHint : 0
; COMPUTE_PGM_RSRC2:SCRATCH_EN: 0
; COMPUTE_PGM_RSRC2:USER_SGPR: 15
; COMPUTE_PGM_RSRC2:TRAP_HANDLER: 0
; COMPUTE_PGM_RSRC2:TGID_X_EN: 1
; COMPUTE_PGM_RSRC2:TGID_Y_EN: 0
; COMPUTE_PGM_RSRC2:TGID_Z_EN: 0
; COMPUTE_PGM_RSRC2:TIDIG_COMP_CNT: 0
	.section	.text._ZN2at6native12_GLOBAL__N_125multi_tensor_apply_kernelINS1_18TensorListMetadataILi2EEENS1_22TernaryOpScalarFunctorIfLi2ELi2ELi0EEEJNS0_11LerpFunctorIfEEfEEEvT_T0_DpT1_,"axG",@progbits,_ZN2at6native12_GLOBAL__N_125multi_tensor_apply_kernelINS1_18TensorListMetadataILi2EEENS1_22TernaryOpScalarFunctorIfLi2ELi2ELi0EEEJNS0_11LerpFunctorIfEEfEEEvT_T0_DpT1_,comdat
	.globl	_ZN2at6native12_GLOBAL__N_125multi_tensor_apply_kernelINS1_18TensorListMetadataILi2EEENS1_22TernaryOpScalarFunctorIfLi2ELi2ELi0EEEJNS0_11LerpFunctorIfEEfEEEvT_T0_DpT1_ ; -- Begin function _ZN2at6native12_GLOBAL__N_125multi_tensor_apply_kernelINS1_18TensorListMetadataILi2EEENS1_22TernaryOpScalarFunctorIfLi2ELi2ELi0EEEJNS0_11LerpFunctorIfEEfEEEvT_T0_DpT1_
	.p2align	8
	.type	_ZN2at6native12_GLOBAL__N_125multi_tensor_apply_kernelINS1_18TensorListMetadataILi2EEENS1_22TernaryOpScalarFunctorIfLi2ELi2ELi0EEEJNS0_11LerpFunctorIfEEfEEEvT_T0_DpT1_,@function
_ZN2at6native12_GLOBAL__N_125multi_tensor_apply_kernelINS1_18TensorListMetadataILi2EEENS1_22TernaryOpScalarFunctorIfLi2ELi2ELi0EEEJNS0_11LerpFunctorIfEEfEEEvT_T0_DpT1_: ; @_ZN2at6native12_GLOBAL__N_125multi_tensor_apply_kernelINS1_18TensorListMetadataILi2EEENS1_22TernaryOpScalarFunctorIfLi2ELi2ELi0EEEJNS0_11LerpFunctorIfEEfEEEvT_T0_DpT1_
; %bb.0:
	v_mov_b32_e32 v1, s15
	s_add_u32 s2, s0, s15
	s_mul_hi_u32 s3, s15, 3
	s_mul_i32 s15, s15, 3
	s_addc_u32 s4, s1, 0
	global_load_u8 v1, v1, s[0:1] offset:1536
	s_add_u32 s2, s2, s15
	s_addc_u32 s3, s4, s3
	s_mov_b32 s19, 0
	s_load_b32 s2, s[2:3], 0x740
	s_mov_b32 s21, s19
	s_mov_b32 s23, s19
	s_waitcnt vmcnt(0)
	v_readfirstlane_b32 s3, v1
	s_delay_alu instid0(VALU_DEP_1)
	s_lshl_b32 s3, s3, 3
	s_clause 0x3
	s_load_b64 s[12:13], s[0:1], s3 offset:0x0
	s_load_b64 s[14:15], s[0:1], s3 offset:0x200
	;; [unrolled: 1-line block ×3, first 2 shown]
	s_load_b32 s5, s[0:1], 0xc4c
	s_waitcnt lgkmcnt(0)
	s_ashr_i32 s3, s2, 31
	s_delay_alu instid0(SALU_CYCLE_1) | instskip(NEXT) | instid1(SALU_CYCLE_1)
	s_lshl_b64 s[6:7], s[2:3], 18
	s_add_u32 s10, s12, s6
	s_addc_u32 s11, s13, s7
	s_and_b32 s18, s10, 15
	s_add_u32 s16, s14, s6
	s_addc_u32 s17, s15, s7
	s_and_b32 s20, s8, 3
	s_and_b32 s22, s16, 15
	s_or_b64 s[18:19], s[18:19], s[20:21]
	s_lshl_b64 s[2:3], s[2:3], 16
	s_or_b64 s[18:19], s[22:23], s[18:19]
	s_sub_u32 s8, s8, s2
	s_subb_u32 s9, s9, s3
	s_cmp_eq_u64 s[18:19], 0
	s_mov_b32 s2, -1
	s_cbranch_scc0 .LBB19_5
; %bb.1:
	v_dual_mov_b32 v2, 0 :: v_dual_lshlrev_b32 v1, 2, v0
	s_mov_b32 s18, exec_lo
	s_delay_alu instid0(VALU_DEP_1)
	v_cmpx_gt_i64_e64 s[8:9], v[1:2]
	s_cbranch_execz .LBB19_4
; %bb.2:
	s_load_b32 s2, s[0:1], 0xc5c
	v_cmp_lt_f32_e64 vcc_lo, |s5|, 0.5
	v_sub_f32_e64 v3, 1.0, s5
	v_lshlrev_b32_e32 v4, 4, v0
	s_mov_b32 s19, 0
	s_waitcnt lgkmcnt(0)
	s_and_b32 s2, s2, 0xffff
	s_delay_alu instid0(SALU_CYCLE_1)
	v_add_lshl_u32 v1, v0, s2, 2
	s_lshl_b32 s20, s2, 2
	s_lshl_b32 s21, s2, 4
.LBB19_3:                               ; =>This Inner Loop Header: Depth=1
	v_add_co_u32 v13, s2, s10, v4
	s_delay_alu instid0(VALU_DEP_1) | instskip(SKIP_1) | instid1(VALU_DEP_1)
	v_add_co_ci_u32_e64 v14, null, s11, 0, s2
	v_add_co_u32 v9, s2, s16, v4
	v_add_co_ci_u32_e64 v10, null, s17, 0, s2
	global_load_b128 v[5:8], v[13:14], off
	global_load_b128 v[9:12], v[9:10], off
	v_cmp_le_i64_e64 s2, s[8:9], v[1:2]
	v_cmp_lt_u64_e64 s3, 0xffff, v[1:2]
	v_add_co_u32 v1, s4, v1, s20
	s_delay_alu instid0(VALU_DEP_1) | instskip(NEXT) | instid1(VALU_DEP_3)
	v_add_co_ci_u32_e64 v2, s4, 0, v2, s4
	s_or_b32 s2, s2, s3
	s_add_u32 s10, s10, s21
	s_addc_u32 s11, s11, 0
	s_add_u32 s16, s16, s21
	s_addc_u32 s17, s17, 0
	s_and_b32 s2, exec_lo, s2
	s_delay_alu instid0(SALU_CYCLE_1) | instskip(SKIP_3) | instid1(VALU_DEP_2)
	s_or_b32 s19, s2, s19
	s_waitcnt vmcnt(0)
	v_dual_sub_f32 v15, v9, v5 :: v_dual_sub_f32 v16, v10, v6
	v_dual_sub_f32 v17, v11, v7 :: v_dual_sub_f32 v18, v12, v8
	v_fma_f32 v5, s5, v15, v5
	v_fma_f32 v9, -v3, v15, v9
	s_delay_alu instid0(VALU_DEP_4)
	v_fma_f32 v6, s5, v16, v6
	v_fma_f32 v10, -v3, v16, v10
	v_fma_f32 v7, s5, v17, v7
	v_fma_f32 v11, -v3, v17, v11
	v_dual_fmac_f32 v8, s5, v18 :: v_dual_cndmask_b32 v5, v9, v5
	v_fma_f32 v12, -v3, v18, v12
	s_delay_alu instid0(VALU_DEP_3) | instskip(NEXT) | instid1(VALU_DEP_2)
	v_dual_cndmask_b32 v6, v10, v6 :: v_dual_cndmask_b32 v7, v11, v7
	v_cndmask_b32_e32 v8, v12, v8, vcc_lo
	global_store_b128 v[13:14], v[5:8], off
	s_and_not1_b32 exec_lo, exec_lo, s19
	s_cbranch_execnz .LBB19_3
.LBB19_4:
	s_or_b32 exec_lo, exec_lo, s18
	s_mov_b32 s2, 0
.LBB19_5:
	s_delay_alu instid0(SALU_CYCLE_1)
	s_and_not1_b32 vcc_lo, exec_lo, s2
	s_cbranch_vccnz .LBB19_25
; %bb.6:
	v_cmp_lt_i64_e64 s2, s[8:9], 1
	s_delay_alu instid0(VALU_DEP_1)
	s_and_b32 vcc_lo, exec_lo, s2
	s_cbranch_vccnz .LBB19_25
; %bb.7:
	s_load_b32 s1, s[0:1], 0xc5c
	v_dual_mov_b32 v11, 0 :: v_dual_lshlrev_b32 v10, 2, v0
	v_cmp_gt_u64_e64 s2, 0x10000, s[8:9]
	v_cmp_lt_f32_e64 s0, |s5|, 0.5
	v_sub_f32_e64 v1, 1.0, s5
	s_delay_alu instid0(VALU_DEP_4) | instskip(NEXT) | instid1(VALU_DEP_1)
	v_add_co_u32 v2, s3, s12, v10
	v_add_co_ci_u32_e64 v3, null, s13, 0, s3
	v_add_co_u32 v4, s3, s14, v10
	s_delay_alu instid0(VALU_DEP_1)
	v_add_co_ci_u32_e64 v5, null, s15, 0, s3
	s_waitcnt lgkmcnt(0)
	s_and_b32 s1, s1, 0xffff
	s_and_b32 s2, s2, exec_lo
	v_mad_u64_u32 v[8:9], null, s1, 12, v[10:11]
	s_cselect_b32 s11, s9, 0
	s_cselect_b32 s10, s8, 0x10000
	s_mul_i32 s3, s1, 3
	s_lshl_b32 s4, s1, 3
	s_lshl_b32 s2, s1, 1
	v_add_co_u32 v15, s4, s4, v10
	v_add_co_u32 v10, s3, s3, v0
	s_delay_alu instid0(VALU_DEP_1) | instskip(SKIP_3) | instid1(VALU_DEP_3)
	v_add_co_ci_u32_e64 v11, null, 0, 0, s3
	v_add_co_u32 v14, s3, v0, s1
	v_add_co_u32 v6, vcc_lo, s12, v8
	v_add_co_ci_u32_e32 v7, vcc_lo, s13, v9, vcc_lo
	v_lshlrev_b32_e32 v22, 2, v14
	v_add_co_u32 v8, vcc_lo, s14, v8
	v_add_co_ci_u32_e64 v16, null, 0, 0, s4
	v_add_co_ci_u32_e32 v9, vcc_lo, s15, v9, vcc_lo
	v_add_co_u32 v18, s2, s2, v0
	v_add_co_u32 v12, vcc_lo, s12, v15
	v_add_co_ci_u32_e64 v19, null, 0, 0, s2
	v_add_co_u32 v20, s2, s12, v22
	v_add_co_ci_u32_e32 v13, vcc_lo, s13, v16, vcc_lo
	v_add_co_u32 v15, vcc_lo, s14, v15
	v_add_co_ci_u32_e64 v21, null, s13, 0, s2
	v_add_co_u32 v22, s2, s14, v22
	v_add_co_ci_u32_e32 v16, vcc_lo, s15, v16, vcc_lo
	v_add_co_ci_u32_e64 v17, null, 0, 0, s3
	v_add_co_ci_u32_e64 v23, null, s15, 0, s2
	s_lshl_b32 s14, s1, 2
	s_lshl_b32 s15, s1, 4
	s_mov_b64 s[12:13], 0
	s_branch .LBB19_9
.LBB19_8:                               ;   in Loop: Header=BB19_9 Depth=1
	s_or_b32 exec_lo, exec_lo, s1
	v_add_co_u32 v2, vcc_lo, v2, s15
	v_add_co_ci_u32_e32 v3, vcc_lo, 0, v3, vcc_lo
	v_add_co_u32 v4, vcc_lo, v4, s15
	v_add_co_ci_u32_e32 v5, vcc_lo, 0, v5, vcc_lo
	;; [unrolled: 2-line block ×5, first 2 shown]
	s_add_u32 s12, s12, s14
	v_add_co_u32 v15, vcc_lo, v15, s15
	s_addc_u32 s13, s13, 0
	v_add_co_ci_u32_e32 v16, vcc_lo, 0, v16, vcc_lo
	v_cmp_ge_i64_e64 s1, s[12:13], s[8:9]
	v_cmp_lt_u64_e64 s2, 0xffff, s[12:13]
	v_add_co_u32 v20, vcc_lo, v20, s15
	v_add_co_ci_u32_e32 v21, vcc_lo, 0, v21, vcc_lo
	v_add_co_u32 v22, vcc_lo, v22, s15
	v_add_co_ci_u32_e32 v23, vcc_lo, 0, v23, vcc_lo
	s_or_b32 s1, s1, s2
	s_delay_alu instid0(SALU_CYCLE_1)
	s_and_b32 vcc_lo, exec_lo, s1
	s_cbranch_vccnz .LBB19_25
.LBB19_9:                               ; =>This Inner Loop Header: Depth=1
	s_waitcnt vmcnt(1)
	v_add_co_u32 v24, s1, v0, s12
	s_delay_alu instid0(VALU_DEP_1) | instskip(SKIP_2) | instid1(VALU_DEP_2)
	v_add_co_ci_u32_e64 v25, null, 0, s13, s1
	s_waitcnt vmcnt(0)
	v_mov_b32_e32 v26, 0
	v_cmp_gt_u64_e32 vcc_lo, s[10:11], v[24:25]
	v_mov_b32_e32 v25, 0
	s_and_saveexec_b32 s2, vcc_lo
	s_cbranch_execz .LBB19_11
; %bb.10:                               ;   in Loop: Header=BB19_9 Depth=1
	v_add_co_u32 v24, s1, v2, s6
	s_delay_alu instid0(VALU_DEP_1) | instskip(SKIP_1) | instid1(VALU_DEP_1)
	v_add_co_ci_u32_e64 v25, s1, s7, v3, s1
	v_add_co_u32 v26, s1, v4, s6
	v_add_co_ci_u32_e64 v27, s1, s7, v5, s1
	global_load_b32 v25, v[24:25], off
	global_load_b32 v26, v[26:27], off
.LBB19_11:                              ;   in Loop: Header=BB19_9 Depth=1
	s_or_b32 exec_lo, exec_lo, s2
	v_add_co_u32 v27, s1, v14, s12
	s_delay_alu instid0(VALU_DEP_1) | instskip(SKIP_1) | instid1(VALU_DEP_2)
	v_add_co_ci_u32_e64 v28, s1, s13, v17, s1
	v_mov_b32_e32 v24, 0
	v_cmp_gt_u64_e64 s1, s[10:11], v[27:28]
	v_dual_mov_b32 v27, 0 :: v_dual_mov_b32 v28, 0
	s_delay_alu instid0(VALU_DEP_2)
	s_and_saveexec_b32 s3, s1
	s_cbranch_execz .LBB19_13
; %bb.12:                               ;   in Loop: Header=BB19_9 Depth=1
	v_add_co_u32 v27, s2, v20, s6
	s_delay_alu instid0(VALU_DEP_1) | instskip(SKIP_1) | instid1(VALU_DEP_1)
	v_add_co_ci_u32_e64 v28, s2, s7, v21, s2
	v_add_co_u32 v29, s2, v22, s6
	v_add_co_ci_u32_e64 v30, s2, s7, v23, s2
	global_load_b32 v27, v[27:28], off
	global_load_b32 v28, v[29:30], off
.LBB19_13:                              ;   in Loop: Header=BB19_9 Depth=1
	s_or_b32 exec_lo, exec_lo, s3
	v_add_co_u32 v29, s2, v18, s12
	s_delay_alu instid0(VALU_DEP_1) | instskip(NEXT) | instid1(VALU_DEP_1)
	v_add_co_ci_u32_e64 v30, s2, s13, v19, s2
	v_cmp_gt_u64_e64 s2, s[10:11], v[29:30]
	v_mov_b32_e32 v29, 0
	s_delay_alu instid0(VALU_DEP_2)
	s_and_saveexec_b32 s4, s2
	s_cbranch_execz .LBB19_15
; %bb.14:                               ;   in Loop: Header=BB19_9 Depth=1
	v_add_co_u32 v29, s3, v12, s6
	s_delay_alu instid0(VALU_DEP_1) | instskip(SKIP_1) | instid1(VALU_DEP_1)
	v_add_co_ci_u32_e64 v30, s3, s7, v13, s3
	v_add_co_u32 v31, s3, v15, s6
	v_add_co_ci_u32_e64 v32, s3, s7, v16, s3
	global_load_b32 v24, v[29:30], off
	global_load_b32 v29, v[31:32], off
.LBB19_15:                              ;   in Loop: Header=BB19_9 Depth=1
	s_or_b32 exec_lo, exec_lo, s4
	v_add_co_u32 v30, s3, v10, s12
	s_delay_alu instid0(VALU_DEP_1) | instskip(NEXT) | instid1(VALU_DEP_1)
	v_add_co_ci_u32_e64 v31, s3, s13, v11, s3
	v_cmp_gt_u64_e64 s3, s[10:11], v[30:31]
	v_dual_mov_b32 v30, 0 :: v_dual_mov_b32 v31, 0
	s_delay_alu instid0(VALU_DEP_2)
	s_and_saveexec_b32 s16, s3
	s_cbranch_execnz .LBB19_20
; %bb.16:                               ;   in Loop: Header=BB19_9 Depth=1
	s_or_b32 exec_lo, exec_lo, s16
	s_and_saveexec_b32 s4, vcc_lo
	s_cbranch_execnz .LBB19_21
.LBB19_17:                              ;   in Loop: Header=BB19_9 Depth=1
	s_or_b32 exec_lo, exec_lo, s4
	s_and_saveexec_b32 s4, s1
	s_cbranch_execnz .LBB19_22
.LBB19_18:                              ;   in Loop: Header=BB19_9 Depth=1
	s_or_b32 exec_lo, exec_lo, s4
	s_and_saveexec_b32 s1, s2
	s_cbranch_execnz .LBB19_23
.LBB19_19:                              ;   in Loop: Header=BB19_9 Depth=1
	s_or_b32 exec_lo, exec_lo, s1
	s_and_saveexec_b32 s1, s3
	s_cbranch_execz .LBB19_8
	s_branch .LBB19_24
.LBB19_20:                              ;   in Loop: Header=BB19_9 Depth=1
	v_add_co_u32 v30, s4, v6, s6
	s_delay_alu instid0(VALU_DEP_1) | instskip(SKIP_1) | instid1(VALU_DEP_1)
	v_add_co_ci_u32_e64 v31, s4, s7, v7, s4
	v_add_co_u32 v32, s4, v8, s6
	v_add_co_ci_u32_e64 v33, s4, s7, v9, s4
	global_load_b32 v30, v[30:31], off
	global_load_b32 v31, v[32:33], off
	s_or_b32 exec_lo, exec_lo, s16
	s_and_saveexec_b32 s4, vcc_lo
	s_cbranch_execz .LBB19_17
.LBB19_21:                              ;   in Loop: Header=BB19_9 Depth=1
	s_waitcnt vmcnt(0)
	v_sub_f32_e32 v32, v26, v25
	s_delay_alu instid0(VALU_DEP_1) | instskip(SKIP_3) | instid1(VALU_DEP_3)
	v_fmac_f32_e32 v25, s5, v32
	v_fma_f32 v26, -v1, v32, v26
	v_add_co_u32 v32, vcc_lo, v2, s6
	v_add_co_ci_u32_e32 v33, vcc_lo, s7, v3, vcc_lo
	v_cndmask_b32_e64 v25, v26, v25, s0
	global_store_b32 v[32:33], v25, off
	s_or_b32 exec_lo, exec_lo, s4
	s_and_saveexec_b32 s4, s1
	s_cbranch_execz .LBB19_18
.LBB19_22:                              ;   in Loop: Header=BB19_9 Depth=1
	s_waitcnt vmcnt(0)
	v_sub_f32_e32 v25, v28, v27
	s_delay_alu instid0(VALU_DEP_1) | instskip(SKIP_1) | instid1(VALU_DEP_1)
	v_fmac_f32_e32 v27, s5, v25
	v_fma_f32 v25, -v1, v25, v28
	v_cndmask_b32_e64 v27, v25, v27, s0
	v_add_co_u32 v25, vcc_lo, v20, s6
	v_add_co_ci_u32_e32 v26, vcc_lo, s7, v21, vcc_lo
	global_store_b32 v[25:26], v27, off
	s_or_b32 exec_lo, exec_lo, s4
	s_and_saveexec_b32 s1, s2
	s_cbranch_execz .LBB19_19
.LBB19_23:                              ;   in Loop: Header=BB19_9 Depth=1
	s_waitcnt vmcnt(0)
	v_sub_f32_e32 v25, v29, v24
	s_delay_alu instid0(VALU_DEP_1) | instskip(SKIP_1) | instid1(VALU_DEP_1)
	v_fmac_f32_e32 v24, s5, v25
	v_fma_f32 v25, -v1, v25, v29
	v_cndmask_b32_e64 v26, v25, v24, s0
	v_add_co_u32 v24, vcc_lo, v12, s6
	v_add_co_ci_u32_e32 v25, vcc_lo, s7, v13, vcc_lo
	global_store_b32 v[24:25], v26, off
	s_or_b32 exec_lo, exec_lo, s1
	s_and_saveexec_b32 s1, s3
	s_cbranch_execz .LBB19_8
.LBB19_24:                              ;   in Loop: Header=BB19_9 Depth=1
	s_waitcnt vmcnt(0)
	v_sub_f32_e32 v24, v31, v30
	s_delay_alu instid0(VALU_DEP_1) | instskip(SKIP_1) | instid1(VALU_DEP_1)
	v_fmac_f32_e32 v30, s5, v24
	v_fma_f32 v24, -v1, v24, v31
	v_cndmask_b32_e64 v26, v24, v30, s0
	v_add_co_u32 v24, vcc_lo, v6, s6
	v_add_co_ci_u32_e32 v25, vcc_lo, s7, v7, vcc_lo
	global_store_b32 v[24:25], v26, off
	s_branch .LBB19_8
.LBB19_25:
	s_nop 0
	s_sendmsg sendmsg(MSG_DEALLOC_VGPRS)
	s_endpgm
	.section	.rodata,"a",@progbits
	.p2align	6, 0x0
	.amdhsa_kernel _ZN2at6native12_GLOBAL__N_125multi_tensor_apply_kernelINS1_18TensorListMetadataILi2EEENS1_22TernaryOpScalarFunctorIfLi2ELi2ELi0EEEJNS0_11LerpFunctorIfEEfEEEvT_T0_DpT1_
		.amdhsa_group_segment_fixed_size 0
		.amdhsa_private_segment_fixed_size 0
		.amdhsa_kernarg_size 3408
		.amdhsa_user_sgpr_count 15
		.amdhsa_user_sgpr_dispatch_ptr 0
		.amdhsa_user_sgpr_queue_ptr 0
		.amdhsa_user_sgpr_kernarg_segment_ptr 1
		.amdhsa_user_sgpr_dispatch_id 0
		.amdhsa_user_sgpr_private_segment_size 0
		.amdhsa_wavefront_size32 1
		.amdhsa_uses_dynamic_stack 0
		.amdhsa_enable_private_segment 0
		.amdhsa_system_sgpr_workgroup_id_x 1
		.amdhsa_system_sgpr_workgroup_id_y 0
		.amdhsa_system_sgpr_workgroup_id_z 0
		.amdhsa_system_sgpr_workgroup_info 0
		.amdhsa_system_vgpr_workitem_id 0
		.amdhsa_next_free_vgpr 34
		.amdhsa_next_free_sgpr 24
		.amdhsa_reserve_vcc 1
		.amdhsa_float_round_mode_32 0
		.amdhsa_float_round_mode_16_64 0
		.amdhsa_float_denorm_mode_32 3
		.amdhsa_float_denorm_mode_16_64 3
		.amdhsa_dx10_clamp 1
		.amdhsa_ieee_mode 1
		.amdhsa_fp16_overflow 0
		.amdhsa_workgroup_processor_mode 1
		.amdhsa_memory_ordered 1
		.amdhsa_forward_progress 0
		.amdhsa_shared_vgpr_count 0
		.amdhsa_exception_fp_ieee_invalid_op 0
		.amdhsa_exception_fp_denorm_src 0
		.amdhsa_exception_fp_ieee_div_zero 0
		.amdhsa_exception_fp_ieee_overflow 0
		.amdhsa_exception_fp_ieee_underflow 0
		.amdhsa_exception_fp_ieee_inexact 0
		.amdhsa_exception_int_div_zero 0
	.end_amdhsa_kernel
	.section	.text._ZN2at6native12_GLOBAL__N_125multi_tensor_apply_kernelINS1_18TensorListMetadataILi2EEENS1_22TernaryOpScalarFunctorIfLi2ELi2ELi0EEEJNS0_11LerpFunctorIfEEfEEEvT_T0_DpT1_,"axG",@progbits,_ZN2at6native12_GLOBAL__N_125multi_tensor_apply_kernelINS1_18TensorListMetadataILi2EEENS1_22TernaryOpScalarFunctorIfLi2ELi2ELi0EEEJNS0_11LerpFunctorIfEEfEEEvT_T0_DpT1_,comdat
.Lfunc_end19:
	.size	_ZN2at6native12_GLOBAL__N_125multi_tensor_apply_kernelINS1_18TensorListMetadataILi2EEENS1_22TernaryOpScalarFunctorIfLi2ELi2ELi0EEEJNS0_11LerpFunctorIfEEfEEEvT_T0_DpT1_, .Lfunc_end19-_ZN2at6native12_GLOBAL__N_125multi_tensor_apply_kernelINS1_18TensorListMetadataILi2EEENS1_22TernaryOpScalarFunctorIfLi2ELi2ELi0EEEJNS0_11LerpFunctorIfEEfEEEvT_T0_DpT1_
                                        ; -- End function
	.section	.AMDGPU.csdata,"",@progbits
; Kernel info:
; codeLenInByte = 1740
; NumSgprs: 26
; NumVgprs: 34
; ScratchSize: 0
; MemoryBound: 0
; FloatMode: 240
; IeeeMode: 1
; LDSByteSize: 0 bytes/workgroup (compile time only)
; SGPRBlocks: 3
; VGPRBlocks: 4
; NumSGPRsForWavesPerEU: 26
; NumVGPRsForWavesPerEU: 34
; Occupancy: 16
; WaveLimiterHint : 0
; COMPUTE_PGM_RSRC2:SCRATCH_EN: 0
; COMPUTE_PGM_RSRC2:USER_SGPR: 15
; COMPUTE_PGM_RSRC2:TRAP_HANDLER: 0
; COMPUTE_PGM_RSRC2:TGID_X_EN: 1
; COMPUTE_PGM_RSRC2:TGID_Y_EN: 0
; COMPUTE_PGM_RSRC2:TGID_Z_EN: 0
; COMPUTE_PGM_RSRC2:TIDIG_COMP_CNT: 0
	.section	.text._ZN2at6native12_GLOBAL__N_125multi_tensor_apply_kernelINS1_18TensorListMetadataILi2EEENS1_22TernaryOpScalarFunctorIN3c107complexIdEELi2ELi2ELi0EEEJNS0_11LerpFunctorIS8_EES8_EEEvT_T0_DpT1_,"axG",@progbits,_ZN2at6native12_GLOBAL__N_125multi_tensor_apply_kernelINS1_18TensorListMetadataILi2EEENS1_22TernaryOpScalarFunctorIN3c107complexIdEELi2ELi2ELi0EEEJNS0_11LerpFunctorIS8_EES8_EEEvT_T0_DpT1_,comdat
	.globl	_ZN2at6native12_GLOBAL__N_125multi_tensor_apply_kernelINS1_18TensorListMetadataILi2EEENS1_22TernaryOpScalarFunctorIN3c107complexIdEELi2ELi2ELi0EEEJNS0_11LerpFunctorIS8_EES8_EEEvT_T0_DpT1_ ; -- Begin function _ZN2at6native12_GLOBAL__N_125multi_tensor_apply_kernelINS1_18TensorListMetadataILi2EEENS1_22TernaryOpScalarFunctorIN3c107complexIdEELi2ELi2ELi0EEEJNS0_11LerpFunctorIS8_EES8_EEEvT_T0_DpT1_
	.p2align	8
	.type	_ZN2at6native12_GLOBAL__N_125multi_tensor_apply_kernelINS1_18TensorListMetadataILi2EEENS1_22TernaryOpScalarFunctorIN3c107complexIdEELi2ELi2ELi0EEEJNS0_11LerpFunctorIS8_EES8_EEEvT_T0_DpT1_,@function
_ZN2at6native12_GLOBAL__N_125multi_tensor_apply_kernelINS1_18TensorListMetadataILi2EEENS1_22TernaryOpScalarFunctorIN3c107complexIdEELi2ELi2ELi0EEEJNS0_11LerpFunctorIS8_EES8_EEEvT_T0_DpT1_: ; @_ZN2at6native12_GLOBAL__N_125multi_tensor_apply_kernelINS1_18TensorListMetadataILi2EEENS1_22TernaryOpScalarFunctorIN3c107complexIdEELi2ELi2ELi0EEEJNS0_11LerpFunctorIS8_EES8_EEEvT_T0_DpT1_
; %bb.0:
	v_mov_b32_e32 v1, s15
	s_add_u32 s2, s0, s15
	s_mul_hi_u32 s3, s15, 3
	s_mul_i32 s15, s15, 3
	s_addc_u32 s4, s1, 0
	global_load_u8 v1, v1, s[0:1] offset:1536
	s_add_u32 s2, s2, s15
	s_addc_u32 s3, s4, s3
	s_mov_b32 s23, 0
	s_load_b32 s2, s[2:3], 0x740
	s_mov_b32 s25, s23
	s_mov_b32 s27, s23
	s_waitcnt vmcnt(0)
	v_readfirstlane_b32 s3, v1
	s_delay_alu instid0(VALU_DEP_1)
	s_lshl_b32 s3, s3, 3
	s_clause 0x3
	s_load_b64 s[18:19], s[0:1], s3 offset:0x0
	s_load_b64 s[20:21], s[0:1], s3 offset:0x200
	;; [unrolled: 1-line block ×3, first 2 shown]
	s_load_b128 s[8:11], s[0:1], 0xc50
	s_waitcnt lgkmcnt(0)
	s_ashr_i32 s3, s2, 31
	s_delay_alu instid0(SALU_CYCLE_1) | instskip(NEXT) | instid1(SALU_CYCLE_1)
	s_lshl_b64 s[6:7], s[2:3], 20
	s_add_u32 s5, s18, s6
	s_addc_u32 s14, s19, s7
	s_add_u32 s15, s20, s6
	s_addc_u32 s16, s21, s7
	s_and_b32 s24, s5, 63
	s_and_b32 s26, s12, 3
	;; [unrolled: 1-line block ×3, first 2 shown]
	s_or_b64 s[24:25], s[24:25], s[26:27]
	s_lshl_b64 s[2:3], s[2:3], 16
	s_or_b64 s[22:23], s[22:23], s[24:25]
	s_sub_u32 s12, s12, s2
	s_subb_u32 s13, s13, s3
	s_cmp_eq_u64 s[22:23], 0
	s_mov_b32 s2, -1
	s_cbranch_scc0 .LBB20_21
; %bb.1:
	v_dual_mov_b32 v34, 0 :: v_dual_lshlrev_b32 v33, 2, v0
	s_mov_b32 s17, exec_lo
	s_delay_alu instid0(VALU_DEP_1)
	v_cmpx_gt_i64_e64 s[12:13], v[33:34]
	s_cbranch_execz .LBB20_20
; %bb.2:
	v_mul_f64 v[1:2], s[10:11], s[10:11]
	s_load_b32 s2, s[0:1], 0xc6c
	v_add_f64 v[35:36], -s[8:9], 1.0
	v_add_f64 v[37:38], -s[10:11], 0
	v_lshlrev_b32_e32 v45, 6, v0
	s_mov_b32 s22, 0
	s_waitcnt lgkmcnt(0)
	s_and_b32 s3, s2, 0xffff
	s_delay_alu instid0(SALU_CYCLE_1) | instskip(SKIP_3) | instid1(VALU_DEP_1)
	v_add_lshl_u32 v33, v0, s3, 2
	s_lshl_b32 s23, s3, 2
	s_lshl_b32 s24, s3, 6
	v_fma_f64 v[1:2], s[8:9], s[8:9], v[1:2]
	v_cmp_ngt_f64_e64 s2, 0x3fd00000, v[1:2]
	s_branch .LBB20_4
.LBB20_3:                               ;   in Loop: Header=BB20_4 Depth=1
	v_cmp_le_i64_e32 vcc_lo, s[12:13], v[33:34]
	v_cmp_lt_u64_e64 s3, 0xffff, v[33:34]
	v_add_co_u32 v33, s4, v33, s23
	s_delay_alu instid0(VALU_DEP_1)
	v_add_co_ci_u32_e64 v34, s4, 0, v34, s4
	s_clause 0x1
	global_store_b128 v[39:40], v[1:4], off
	global_store_b128 v[39:40], v[13:16], off offset:16
	s_or_b32 s3, vcc_lo, s3
	s_add_u32 s5, s5, s24
	s_addc_u32 s14, s14, 0
	s_add_u32 s15, s15, s24
	s_addc_u32 s16, s16, 0
	s_and_b32 s3, exec_lo, s3
	s_clause 0x1
	global_store_b128 v[39:40], v[21:24], off offset:32
	global_store_b128 v[39:40], v[9:12], off offset:48
	s_or_b32 s22, s3, s22
	s_delay_alu instid0(SALU_CYCLE_1)
	s_and_not1_b32 exec_lo, exec_lo, s22
	s_cbranch_execz .LBB20_20
.LBB20_4:                               ; =>This Inner Loop Header: Depth=1
	v_add_co_u32 v39, s3, s5, v45
	s_delay_alu instid0(VALU_DEP_1) | instskip(SKIP_1) | instid1(VALU_DEP_1)
	v_add_co_ci_u32_e64 v40, null, s14, 0, s3
	v_add_co_u32 v21, s3, s15, v45
	v_add_co_ci_u32_e64 v22, null, s16, 0, s3
	global_load_b128 v[29:32], v[39:40], off
	global_load_b128 v[1:4], v[21:22], off
	global_load_b128 v[25:28], v[39:40], off offset:16
	global_load_b128 v[13:16], v[21:22], off offset:16
	s_clause 0x1
	global_load_b128 v[5:8], v[39:40], off offset:48
	global_load_b128 v[17:20], v[39:40], off offset:32
	s_clause 0x1
	global_load_b128 v[9:12], v[21:22], off offset:48
	global_load_b128 v[21:24], v[21:22], off offset:32
	s_and_b32 vcc_lo, exec_lo, s2
	s_waitcnt vmcnt(6)
	v_add_f64 v[41:42], v[1:2], -v[29:30]
	v_add_f64 v[43:44], v[3:4], -v[31:32]
	s_cbranch_vccz .LBB20_6
; %bb.5:                                ;   in Loop: Header=BB20_4 Depth=1
	s_delay_alu instid0(VALU_DEP_1) | instskip(SKIP_1) | instid1(VALU_DEP_2)
	v_mul_f64 v[46:47], v[37:38], v[43:44]
	v_mul_f64 v[48:49], v[35:36], v[43:44]
	v_fma_f64 v[46:47], v[35:36], v[41:42], -v[46:47]
	s_delay_alu instid0(VALU_DEP_2) | instskip(NEXT) | instid1(VALU_DEP_2)
	v_fma_f64 v[48:49], v[37:38], v[41:42], v[48:49]
	v_add_f64 v[1:2], v[1:2], -v[46:47]
	s_delay_alu instid0(VALU_DEP_2)
	v_add_f64 v[3:4], v[3:4], -v[48:49]
	s_cbranch_execz .LBB20_7
	s_branch .LBB20_8
.LBB20_6:                               ;   in Loop: Header=BB20_4 Depth=1
                                        ; implicit-def: $vgpr3_vgpr4
.LBB20_7:                               ;   in Loop: Header=BB20_4 Depth=1
	s_delay_alu instid0(VALU_DEP_1) | instskip(SKIP_1) | instid1(VALU_DEP_2)
	v_mul_f64 v[1:2], s[10:11], v[43:44]
	v_mul_f64 v[3:4], s[8:9], v[43:44]
	v_fma_f64 v[1:2], s[8:9], v[41:42], -v[1:2]
	s_delay_alu instid0(VALU_DEP_2) | instskip(NEXT) | instid1(VALU_DEP_2)
	v_fma_f64 v[3:4], s[10:11], v[41:42], v[3:4]
	v_add_f64 v[1:2], v[29:30], v[1:2]
	s_delay_alu instid0(VALU_DEP_2)
	v_add_f64 v[3:4], v[31:32], v[3:4]
.LBB20_8:                               ;   in Loop: Header=BB20_4 Depth=1
	s_waitcnt vmcnt(4)
	v_add_f64 v[29:30], v[13:14], -v[25:26]
	v_add_f64 v[31:32], v[15:16], -v[27:28]
	s_and_not1_b32 vcc_lo, exec_lo, s2
	s_cbranch_vccnz .LBB20_10
; %bb.9:                                ;   in Loop: Header=BB20_4 Depth=1
	s_delay_alu instid0(VALU_DEP_1) | instskip(SKIP_1) | instid1(VALU_DEP_2)
	v_mul_f64 v[41:42], v[37:38], v[31:32]
	v_mul_f64 v[43:44], v[35:36], v[31:32]
	v_fma_f64 v[41:42], v[35:36], v[29:30], -v[41:42]
	s_delay_alu instid0(VALU_DEP_2) | instskip(NEXT) | instid1(VALU_DEP_2)
	v_fma_f64 v[43:44], v[37:38], v[29:30], v[43:44]
	v_add_f64 v[13:14], v[13:14], -v[41:42]
	s_delay_alu instid0(VALU_DEP_2)
	v_add_f64 v[15:16], v[15:16], -v[43:44]
	s_cbranch_execz .LBB20_11
	s_branch .LBB20_12
.LBB20_10:                              ;   in Loop: Header=BB20_4 Depth=1
                                        ; implicit-def: $vgpr15_vgpr16
.LBB20_11:                              ;   in Loop: Header=BB20_4 Depth=1
	s_delay_alu instid0(VALU_DEP_1) | instskip(SKIP_1) | instid1(VALU_DEP_2)
	v_mul_f64 v[13:14], s[10:11], v[31:32]
	v_mul_f64 v[15:16], s[8:9], v[31:32]
	v_fma_f64 v[13:14], s[8:9], v[29:30], -v[13:14]
	s_delay_alu instid0(VALU_DEP_2) | instskip(NEXT) | instid1(VALU_DEP_2)
	v_fma_f64 v[15:16], s[10:11], v[29:30], v[15:16]
	v_add_f64 v[13:14], v[25:26], v[13:14]
	s_delay_alu instid0(VALU_DEP_2)
	v_add_f64 v[15:16], v[27:28], v[15:16]
.LBB20_12:                              ;   in Loop: Header=BB20_4 Depth=1
	s_waitcnt vmcnt(0)
	v_add_f64 v[25:26], v[21:22], -v[17:18]
	v_add_f64 v[27:28], v[23:24], -v[19:20]
	s_and_not1_b32 vcc_lo, exec_lo, s2
	s_cbranch_vccnz .LBB20_14
; %bb.13:                               ;   in Loop: Header=BB20_4 Depth=1
	s_delay_alu instid0(VALU_DEP_1) | instskip(SKIP_1) | instid1(VALU_DEP_2)
	v_mul_f64 v[29:30], v[37:38], v[27:28]
	v_mul_f64 v[31:32], v[35:36], v[27:28]
	v_fma_f64 v[29:30], v[35:36], v[25:26], -v[29:30]
	s_delay_alu instid0(VALU_DEP_2) | instskip(NEXT) | instid1(VALU_DEP_2)
	v_fma_f64 v[31:32], v[37:38], v[25:26], v[31:32]
	v_add_f64 v[21:22], v[21:22], -v[29:30]
	s_delay_alu instid0(VALU_DEP_2)
	v_add_f64 v[23:24], v[23:24], -v[31:32]
	s_cbranch_execz .LBB20_15
	s_branch .LBB20_16
.LBB20_14:                              ;   in Loop: Header=BB20_4 Depth=1
                                        ; implicit-def: $vgpr23_vgpr24
.LBB20_15:                              ;   in Loop: Header=BB20_4 Depth=1
	s_delay_alu instid0(VALU_DEP_1) | instskip(SKIP_1) | instid1(VALU_DEP_2)
	v_mul_f64 v[21:22], s[10:11], v[27:28]
	v_mul_f64 v[23:24], s[8:9], v[27:28]
	v_fma_f64 v[21:22], s[8:9], v[25:26], -v[21:22]
	s_delay_alu instid0(VALU_DEP_2) | instskip(NEXT) | instid1(VALU_DEP_2)
	v_fma_f64 v[23:24], s[10:11], v[25:26], v[23:24]
	v_add_f64 v[21:22], v[17:18], v[21:22]
	s_delay_alu instid0(VALU_DEP_2)
	v_add_f64 v[23:24], v[19:20], v[23:24]
.LBB20_16:                              ;   in Loop: Header=BB20_4 Depth=1
	v_add_f64 v[17:18], v[9:10], -v[5:6]
	v_add_f64 v[19:20], v[11:12], -v[7:8]
	s_and_not1_b32 vcc_lo, exec_lo, s2
	s_cbranch_vccnz .LBB20_18
; %bb.17:                               ;   in Loop: Header=BB20_4 Depth=1
	s_delay_alu instid0(VALU_DEP_1) | instskip(SKIP_1) | instid1(VALU_DEP_2)
	v_mul_f64 v[25:26], v[37:38], v[19:20]
	v_mul_f64 v[27:28], v[35:36], v[19:20]
	v_fma_f64 v[25:26], v[35:36], v[17:18], -v[25:26]
	s_delay_alu instid0(VALU_DEP_2) | instskip(NEXT) | instid1(VALU_DEP_2)
	v_fma_f64 v[27:28], v[37:38], v[17:18], v[27:28]
	v_add_f64 v[9:10], v[9:10], -v[25:26]
	s_delay_alu instid0(VALU_DEP_2)
	v_add_f64 v[11:12], v[11:12], -v[27:28]
	s_cbranch_execnz .LBB20_3
	s_branch .LBB20_19
.LBB20_18:                              ;   in Loop: Header=BB20_4 Depth=1
                                        ; implicit-def: $vgpr11_vgpr12
.LBB20_19:                              ;   in Loop: Header=BB20_4 Depth=1
	s_delay_alu instid0(VALU_DEP_1) | instskip(SKIP_1) | instid1(VALU_DEP_2)
	v_mul_f64 v[9:10], s[10:11], v[19:20]
	v_mul_f64 v[11:12], s[8:9], v[19:20]
	v_fma_f64 v[9:10], s[8:9], v[17:18], -v[9:10]
	s_delay_alu instid0(VALU_DEP_2) | instskip(NEXT) | instid1(VALU_DEP_2)
	v_fma_f64 v[11:12], s[10:11], v[17:18], v[11:12]
	v_add_f64 v[9:10], v[5:6], v[9:10]
	s_delay_alu instid0(VALU_DEP_2)
	v_add_f64 v[11:12], v[7:8], v[11:12]
	s_branch .LBB20_3
.LBB20_20:
	s_or_b32 exec_lo, exec_lo, s17
	s_mov_b32 s2, 0
.LBB20_21:
	s_delay_alu instid0(SALU_CYCLE_1)
	s_and_not1_b32 vcc_lo, exec_lo, s2
	s_cbranch_vccnz .LBB20_57
; %bb.22:
	v_cmp_lt_i64_e64 s2, s[12:13], 1
	s_delay_alu instid0(VALU_DEP_1)
	s_and_b32 vcc_lo, exec_lo, s2
	s_cbranch_vccnz .LBB20_57
; %bb.23:
	v_mul_f64 v[1:2], s[10:11], s[10:11]
	s_load_b32 s0, s[0:1], 0xc6c
	v_cmp_gt_u64_e64 s1, 0x10000, s[12:13]
	v_add_f64 v[34:35], -s[8:9], 1.0
	v_add_f64 v[36:37], -s[10:11], 0
	v_lshl_or_b32 v4, v0, 4, 8
	s_mov_b32 s15, 0
	s_delay_alu instid0(VALU_DEP_1) | instskip(NEXT) | instid1(VALU_DEP_1)
	v_add_co_u32 v42, s2, s20, v4
	v_add_co_ci_u32_e64 v43, null, s21, 0, s2
	s_waitcnt lgkmcnt(0)
	s_and_b32 s5, s0, 0xffff
	s_and_b32 s0, s1, exec_lo
	v_add_lshl_u32 v6, v0, s5, 4
	v_add_co_u32 v44, s1, s18, v4
	s_delay_alu instid0(VALU_DEP_1) | instskip(NEXT) | instid1(VALU_DEP_3)
	v_add_co_ci_u32_e64 v45, null, s19, 0, s1
	v_add_co_u32 v46, s1, s18, v6
	s_delay_alu instid0(VALU_DEP_1)
	v_add_co_ci_u32_e64 v47, null, s19, 0, s1
	v_add_co_u32 v50, s1, s20, v6
	s_cselect_b32 s17, s13, 0
	s_cselect_b32 s16, s12, 0x10000
	v_add_co_ci_u32_e64 v51, null, s21, 0, s1
	v_fma_f64 v[2:3], s[8:9], s[8:9], v[1:2]
	v_mov_b32_e32 v1, 0
	s_lshl_b32 s1, s5, 5
	s_lshl_b32 s14, s5, 2
	;; [unrolled: 1-line block ×3, first 2 shown]
	s_mul_i32 s23, s5, 3
	v_mov_b32_e32 v5, v1
	s_delay_alu instid0(VALU_DEP_3) | instskip(NEXT) | instid1(VALU_DEP_2)
	v_cmp_ngt_f64_e64 s0, 0x3fd00000, v[2:3]
	v_mad_u64_u32 v[2:3], null, s5, 48, v[4:5]
	v_add_co_u32 v4, s1, v4, s1
	s_delay_alu instid0(VALU_DEP_1) | instskip(NEXT) | instid1(VALU_DEP_3)
	v_add_co_ci_u32_e64 v5, null, 0, 0, s1
	v_add_co_u32 v48, vcc_lo, s20, v2
	s_delay_alu instid0(VALU_DEP_4)
	v_add_co_ci_u32_e32 v49, vcc_lo, s21, v3, vcc_lo
	v_add_co_u32 v52, vcc_lo, s18, v2
	v_add_co_ci_u32_e32 v53, vcc_lo, s19, v3, vcc_lo
	v_add_co_u32 v54, vcc_lo, s20, v4
	;; [unrolled: 2-line block ×3, first 2 shown]
	v_add_co_ci_u32_e32 v57, vcc_lo, s19, v5, vcc_lo
	s_lshl_b32 s20, s5, 6
	s_mov_b64 s[18:19], s[14:15]
	s_branch .LBB20_25
.LBB20_24:                              ;   in Loop: Header=BB20_25 Depth=1
	s_or_b32 exec_lo, exec_lo, s1
	v_add_co_u32 v0, vcc_lo, v0, s14
	v_add_co_ci_u32_e32 v1, vcc_lo, 0, v1, vcc_lo
	v_add_co_u32 v42, vcc_lo, v42, s20
	v_add_co_ci_u32_e32 v43, vcc_lo, 0, v43, vcc_lo
	;; [unrolled: 2-line block ×7, first 2 shown]
	v_cmp_ge_i64_e64 s1, s[18:19], s[12:13]
	v_cmp_lt_u64_e64 s2, 0xffff, s[18:19]
	v_add_co_u32 v54, vcc_lo, v54, s20
	v_add_co_ci_u32_e32 v55, vcc_lo, 0, v55, vcc_lo
	v_add_co_u32 v56, vcc_lo, v56, s20
	v_add_co_ci_u32_e32 v57, vcc_lo, 0, v57, vcc_lo
	s_or_b32 s1, s1, s2
	s_add_u32 s18, s18, s14
	s_addc_u32 s19, s19, 0
	s_and_b32 vcc_lo, exec_lo, s1
	s_cbranch_vccnz .LBB20_57
.LBB20_25:                              ; =>This Inner Loop Header: Depth=1
	v_mov_b32_e32 v4, 0
	v_mov_b32_e32 v5, 0
	v_cmp_gt_u64_e64 s1, s[16:17], v[0:1]
	s_delay_alu instid0(VALU_DEP_2)
	v_dual_mov_b32 v29, v5 :: v_dual_mov_b32 v28, v4
	v_dual_mov_b32 v27, v5 :: v_dual_mov_b32 v26, v4
	;; [unrolled: 1-line block ×4, first 2 shown]
	s_and_saveexec_b32 s2, s1
	s_cbranch_execz .LBB20_27
; %bb.26:                               ;   in Loop: Header=BB20_25 Depth=1
	v_add_co_u32 v2, vcc_lo, v44, s6
	v_add_co_ci_u32_e32 v3, vcc_lo, s7, v45, vcc_lo
	v_add_co_u32 v10, vcc_lo, v42, s6
	v_add_co_ci_u32_e32 v11, vcc_lo, s7, v43, vcc_lo
	global_load_b128 v[6:9], v[2:3], off offset:-8
	global_load_b128 v[26:29], v[10:11], off offset:-8
.LBB20_27:                              ;   in Loop: Header=BB20_25 Depth=1
	s_or_b32 exec_lo, exec_lo, s2
	v_add_co_u32 v10, vcc_lo, s5, v0
	v_add_co_ci_u32_e32 v11, vcc_lo, 0, v1, vcc_lo
	v_dual_mov_b32 v2, v4 :: v_dual_mov_b32 v3, v5
	v_dual_mov_b32 v13, v5 :: v_dual_mov_b32 v12, v4
	s_delay_alu instid0(VALU_DEP_3) | instskip(SKIP_1) | instid1(VALU_DEP_2)
	v_cmp_gt_u64_e64 s2, s[16:17], v[10:11]
	v_dual_mov_b32 v11, v5 :: v_dual_mov_b32 v10, v4
	s_and_saveexec_b32 s3, s2
	s_cbranch_execz .LBB20_29
; %bb.28:                               ;   in Loop: Header=BB20_25 Depth=1
	v_add_co_u32 v2, vcc_lo, v46, s6
	v_add_co_ci_u32_e32 v3, vcc_lo, s7, v47, vcc_lo
	v_add_co_u32 v4, vcc_lo, v50, s6
	v_add_co_ci_u32_e32 v5, vcc_lo, s7, v51, vcc_lo
	global_load_b128 v[10:13], v[2:3], off
	global_load_b128 v[2:5], v[4:5], off
.LBB20_29:                              ;   in Loop: Header=BB20_25 Depth=1
	s_or_b32 exec_lo, exec_lo, s3
	v_add_co_u32 v14, vcc_lo, s22, v0
	v_add_co_ci_u32_e32 v15, vcc_lo, 0, v1, vcc_lo
	v_mov_b32_e32 v16, 0
	v_mov_b32_e32 v17, 0
	s_delay_alu instid0(VALU_DEP_3) | instskip(NEXT) | instid1(VALU_DEP_2)
	v_cmp_gt_u64_e64 s3, s[16:17], v[14:15]
	v_dual_mov_b32 v33, v17 :: v_dual_mov_b32 v32, v16
	v_dual_mov_b32 v31, v17 :: v_dual_mov_b32 v30, v16
	;; [unrolled: 1-line block ×4, first 2 shown]
	s_and_saveexec_b32 s4, s3
	s_cbranch_execz .LBB20_31
; %bb.30:                               ;   in Loop: Header=BB20_25 Depth=1
	v_add_co_u32 v14, vcc_lo, v56, s6
	v_add_co_ci_u32_e32 v15, vcc_lo, s7, v57, vcc_lo
	v_add_co_u32 v22, vcc_lo, v54, s6
	v_add_co_ci_u32_e32 v23, vcc_lo, s7, v55, vcc_lo
	global_load_b128 v[18:21], v[14:15], off offset:-8
	global_load_b128 v[30:33], v[22:23], off offset:-8
.LBB20_31:                              ;   in Loop: Header=BB20_25 Depth=1
	s_or_b32 exec_lo, exec_lo, s4
	v_add_co_u32 v22, vcc_lo, s23, v0
	v_add_co_ci_u32_e32 v23, vcc_lo, 0, v1, vcc_lo
	v_dual_mov_b32 v14, v16 :: v_dual_mov_b32 v15, v17
	v_dual_mov_b32 v25, v17 :: v_dual_mov_b32 v24, v16
	s_delay_alu instid0(VALU_DEP_3) | instskip(SKIP_1) | instid1(VALU_DEP_2)
	v_cmp_gt_u64_e64 s4, s[16:17], v[22:23]
	v_dual_mov_b32 v23, v17 :: v_dual_mov_b32 v22, v16
	s_and_saveexec_b32 s15, s4
	s_cbranch_execz .LBB20_33
; %bb.32:                               ;   in Loop: Header=BB20_25 Depth=1
	v_add_co_u32 v14, vcc_lo, v52, s6
	v_add_co_ci_u32_e32 v15, vcc_lo, s7, v53, vcc_lo
	v_add_co_u32 v16, vcc_lo, v48, s6
	v_add_co_ci_u32_e32 v17, vcc_lo, s7, v49, vcc_lo
	global_load_b128 v[22:25], v[14:15], off offset:-8
	global_load_b128 v[14:17], v[16:17], off offset:-8
.LBB20_33:                              ;   in Loop: Header=BB20_25 Depth=1
	s_or_b32 exec_lo, exec_lo, s15
	s_waitcnt vmcnt(0)
	v_add_f64 v[38:39], v[26:27], -v[6:7]
	v_add_f64 v[40:41], v[28:29], -v[8:9]
	s_and_b32 vcc_lo, exec_lo, s0
	s_cbranch_vccz .LBB20_49
; %bb.34:                               ;   in Loop: Header=BB20_25 Depth=1
	s_delay_alu instid0(VALU_DEP_1) | instskip(NEXT) | instid1(VALU_DEP_3)
	v_mul_f64 v[58:59], v[36:37], v[40:41]
	v_mul_f64 v[60:61], v[36:37], v[38:39]
	s_delay_alu instid0(VALU_DEP_2) | instskip(NEXT) | instid1(VALU_DEP_2)
	v_fma_f64 v[58:59], v[34:35], v[38:39], -v[58:59]
	v_fma_f64 v[60:61], v[34:35], v[40:41], v[60:61]
	s_delay_alu instid0(VALU_DEP_2) | instskip(NEXT) | instid1(VALU_DEP_2)
	v_add_f64 v[26:27], v[26:27], -v[58:59]
	v_add_f64 v[28:29], v[28:29], -v[60:61]
	s_cbranch_execnz .LBB20_36
.LBB20_35:                              ;   in Loop: Header=BB20_25 Depth=1
	s_delay_alu instid0(VALU_DEP_1) | instskip(NEXT) | instid1(VALU_DEP_3)
	v_mul_f64 v[26:27], s[10:11], v[40:41]
	v_mul_f64 v[28:29], s[10:11], v[38:39]
	s_delay_alu instid0(VALU_DEP_2) | instskip(NEXT) | instid1(VALU_DEP_2)
	v_fma_f64 v[26:27], s[8:9], v[38:39], -v[26:27]
	v_fma_f64 v[28:29], s[8:9], v[40:41], v[28:29]
	s_delay_alu instid0(VALU_DEP_2) | instskip(NEXT) | instid1(VALU_DEP_2)
	v_add_f64 v[26:27], v[6:7], v[26:27]
	v_add_f64 v[28:29], v[8:9], v[28:29]
.LBB20_36:                              ;   in Loop: Header=BB20_25 Depth=1
	v_add_f64 v[6:7], v[2:3], -v[10:11]
	v_add_f64 v[8:9], v[4:5], -v[12:13]
	s_and_not1_b32 vcc_lo, exec_lo, s0
	s_cbranch_vccnz .LBB20_50
; %bb.37:                               ;   in Loop: Header=BB20_25 Depth=1
	s_delay_alu instid0(VALU_DEP_1) | instskip(NEXT) | instid1(VALU_DEP_3)
	v_mul_f64 v[38:39], v[36:37], v[8:9]
	v_mul_f64 v[40:41], v[36:37], v[6:7]
	s_delay_alu instid0(VALU_DEP_2) | instskip(NEXT) | instid1(VALU_DEP_2)
	v_fma_f64 v[38:39], v[34:35], v[6:7], -v[38:39]
	v_fma_f64 v[40:41], v[34:35], v[8:9], v[40:41]
	s_delay_alu instid0(VALU_DEP_2) | instskip(NEXT) | instid1(VALU_DEP_2)
	v_add_f64 v[2:3], v[2:3], -v[38:39]
	v_add_f64 v[4:5], v[4:5], -v[40:41]
	s_cbranch_execnz .LBB20_39
.LBB20_38:                              ;   in Loop: Header=BB20_25 Depth=1
	s_delay_alu instid0(VALU_DEP_1) | instskip(NEXT) | instid1(VALU_DEP_3)
	v_mul_f64 v[2:3], s[10:11], v[8:9]
	v_mul_f64 v[4:5], s[10:11], v[6:7]
	s_delay_alu instid0(VALU_DEP_2) | instskip(NEXT) | instid1(VALU_DEP_2)
	v_fma_f64 v[2:3], s[8:9], v[6:7], -v[2:3]
	v_fma_f64 v[4:5], s[8:9], v[8:9], v[4:5]
	s_delay_alu instid0(VALU_DEP_2) | instskip(NEXT) | instid1(VALU_DEP_2)
	v_add_f64 v[2:3], v[10:11], v[2:3]
	v_add_f64 v[4:5], v[12:13], v[4:5]
.LBB20_39:                              ;   in Loop: Header=BB20_25 Depth=1
	v_add_f64 v[10:11], v[30:31], -v[18:19]
	v_add_f64 v[12:13], v[32:33], -v[20:21]
	s_and_not1_b32 vcc_lo, exec_lo, s0
	s_cbranch_vccnz .LBB20_51
; %bb.40:                               ;   in Loop: Header=BB20_25 Depth=1
	s_delay_alu instid0(VALU_DEP_1) | instskip(NEXT) | instid1(VALU_DEP_3)
	v_mul_f64 v[6:7], v[36:37], v[12:13]
	v_mul_f64 v[8:9], v[36:37], v[10:11]
	s_delay_alu instid0(VALU_DEP_2) | instskip(NEXT) | instid1(VALU_DEP_2)
	v_fma_f64 v[6:7], v[34:35], v[10:11], -v[6:7]
	v_fma_f64 v[8:9], v[34:35], v[12:13], v[8:9]
	s_delay_alu instid0(VALU_DEP_2) | instskip(NEXT) | instid1(VALU_DEP_2)
	v_add_f64 v[6:7], v[30:31], -v[6:7]
	v_add_f64 v[8:9], v[32:33], -v[8:9]
	s_cbranch_execnz .LBB20_42
.LBB20_41:                              ;   in Loop: Header=BB20_25 Depth=1
	s_delay_alu instid0(VALU_DEP_1) | instskip(NEXT) | instid1(VALU_DEP_3)
	v_mul_f64 v[6:7], s[10:11], v[12:13]
	v_mul_f64 v[8:9], s[10:11], v[10:11]
	s_delay_alu instid0(VALU_DEP_2) | instskip(NEXT) | instid1(VALU_DEP_2)
	v_fma_f64 v[6:7], s[8:9], v[10:11], -v[6:7]
	v_fma_f64 v[8:9], s[8:9], v[12:13], v[8:9]
	s_delay_alu instid0(VALU_DEP_2) | instskip(NEXT) | instid1(VALU_DEP_2)
	v_add_f64 v[6:7], v[18:19], v[6:7]
	v_add_f64 v[8:9], v[20:21], v[8:9]
.LBB20_42:                              ;   in Loop: Header=BB20_25 Depth=1
	v_add_f64 v[18:19], v[14:15], -v[22:23]
	v_add_f64 v[20:21], v[16:17], -v[24:25]
	s_and_not1_b32 vcc_lo, exec_lo, s0
	s_cbranch_vccnz .LBB20_52
; %bb.43:                               ;   in Loop: Header=BB20_25 Depth=1
	s_delay_alu instid0(VALU_DEP_1) | instskip(NEXT) | instid1(VALU_DEP_3)
	v_mul_f64 v[10:11], v[36:37], v[20:21]
	v_mul_f64 v[12:13], v[36:37], v[18:19]
	s_delay_alu instid0(VALU_DEP_2) | instskip(NEXT) | instid1(VALU_DEP_2)
	v_fma_f64 v[10:11], v[34:35], v[18:19], -v[10:11]
	v_fma_f64 v[12:13], v[34:35], v[20:21], v[12:13]
	s_delay_alu instid0(VALU_DEP_2) | instskip(NEXT) | instid1(VALU_DEP_2)
	v_add_f64 v[10:11], v[14:15], -v[10:11]
	v_add_f64 v[12:13], v[16:17], -v[12:13]
	s_cbranch_execnz .LBB20_45
.LBB20_44:                              ;   in Loop: Header=BB20_25 Depth=1
	s_delay_alu instid0(VALU_DEP_1) | instskip(NEXT) | instid1(VALU_DEP_3)
	v_mul_f64 v[10:11], s[10:11], v[20:21]
	v_mul_f64 v[12:13], s[10:11], v[18:19]
	s_delay_alu instid0(VALU_DEP_2) | instskip(NEXT) | instid1(VALU_DEP_2)
	v_fma_f64 v[10:11], s[8:9], v[18:19], -v[10:11]
	v_fma_f64 v[12:13], s[8:9], v[20:21], v[12:13]
	s_delay_alu instid0(VALU_DEP_2) | instskip(NEXT) | instid1(VALU_DEP_2)
	v_add_f64 v[10:11], v[22:23], v[10:11]
	v_add_f64 v[12:13], v[24:25], v[12:13]
.LBB20_45:                              ;   in Loop: Header=BB20_25 Depth=1
	s_and_saveexec_b32 s15, s1
	s_delay_alu instid0(SALU_CYCLE_1)
	s_xor_b32 s1, exec_lo, s15
	s_cbranch_execnz .LBB20_53
; %bb.46:                               ;   in Loop: Header=BB20_25 Depth=1
	s_or_b32 exec_lo, exec_lo, s1
	s_and_saveexec_b32 s1, s2
	s_cbranch_execnz .LBB20_54
.LBB20_47:                              ;   in Loop: Header=BB20_25 Depth=1
	s_or_b32 exec_lo, exec_lo, s1
	s_and_saveexec_b32 s1, s3
	s_cbranch_execnz .LBB20_55
.LBB20_48:                              ;   in Loop: Header=BB20_25 Depth=1
	s_or_b32 exec_lo, exec_lo, s1
	s_and_saveexec_b32 s1, s4
	s_cbranch_execz .LBB20_24
	s_branch .LBB20_56
.LBB20_49:                              ;   in Loop: Header=BB20_25 Depth=1
                                        ; implicit-def: $vgpr28_vgpr29
	s_branch .LBB20_35
.LBB20_50:                              ;   in Loop: Header=BB20_25 Depth=1
                                        ; implicit-def: $vgpr4_vgpr5
	s_branch .LBB20_38
.LBB20_51:                              ;   in Loop: Header=BB20_25 Depth=1
                                        ; implicit-def: $vgpr8_vgpr9
	s_branch .LBB20_41
.LBB20_52:                              ;   in Loop: Header=BB20_25 Depth=1
                                        ; implicit-def: $vgpr12_vgpr13
	s_branch .LBB20_44
.LBB20_53:                              ;   in Loop: Header=BB20_25 Depth=1
	v_add_co_u32 v14, vcc_lo, v44, s6
	v_add_co_ci_u32_e32 v15, vcc_lo, s7, v45, vcc_lo
	global_store_b128 v[14:15], v[26:29], off offset:-8
	s_or_b32 exec_lo, exec_lo, s1
	s_and_saveexec_b32 s1, s2
	s_cbranch_execz .LBB20_47
.LBB20_54:                              ;   in Loop: Header=BB20_25 Depth=1
	v_add_co_u32 v14, vcc_lo, v46, s6
	v_add_co_ci_u32_e32 v15, vcc_lo, s7, v47, vcc_lo
	global_store_b128 v[14:15], v[2:5], off
	s_or_b32 exec_lo, exec_lo, s1
	s_and_saveexec_b32 s1, s3
	s_cbranch_execz .LBB20_48
.LBB20_55:                              ;   in Loop: Header=BB20_25 Depth=1
	v_add_co_u32 v2, vcc_lo, v56, s6
	v_add_co_ci_u32_e32 v3, vcc_lo, s7, v57, vcc_lo
	global_store_b128 v[2:3], v[6:9], off offset:-8
	s_or_b32 exec_lo, exec_lo, s1
	s_and_saveexec_b32 s1, s4
	s_cbranch_execz .LBB20_24
.LBB20_56:                              ;   in Loop: Header=BB20_25 Depth=1
	v_add_co_u32 v2, vcc_lo, v52, s6
	v_add_co_ci_u32_e32 v3, vcc_lo, s7, v53, vcc_lo
	global_store_b128 v[2:3], v[10:13], off offset:-8
	s_branch .LBB20_24
.LBB20_57:
	s_nop 0
	s_sendmsg sendmsg(MSG_DEALLOC_VGPRS)
	s_endpgm
	.section	.rodata,"a",@progbits
	.p2align	6, 0x0
	.amdhsa_kernel _ZN2at6native12_GLOBAL__N_125multi_tensor_apply_kernelINS1_18TensorListMetadataILi2EEENS1_22TernaryOpScalarFunctorIN3c107complexIdEELi2ELi2ELi0EEEJNS0_11LerpFunctorIS8_EES8_EEEvT_T0_DpT1_
		.amdhsa_group_segment_fixed_size 0
		.amdhsa_private_segment_fixed_size 0
		.amdhsa_kernarg_size 3424
		.amdhsa_user_sgpr_count 15
		.amdhsa_user_sgpr_dispatch_ptr 0
		.amdhsa_user_sgpr_queue_ptr 0
		.amdhsa_user_sgpr_kernarg_segment_ptr 1
		.amdhsa_user_sgpr_dispatch_id 0
		.amdhsa_user_sgpr_private_segment_size 0
		.amdhsa_wavefront_size32 1
		.amdhsa_uses_dynamic_stack 0
		.amdhsa_enable_private_segment 0
		.amdhsa_system_sgpr_workgroup_id_x 1
		.amdhsa_system_sgpr_workgroup_id_y 0
		.amdhsa_system_sgpr_workgroup_id_z 0
		.amdhsa_system_sgpr_workgroup_info 0
		.amdhsa_system_vgpr_workitem_id 0
		.amdhsa_next_free_vgpr 62
		.amdhsa_next_free_sgpr 28
		.amdhsa_reserve_vcc 1
		.amdhsa_float_round_mode_32 0
		.amdhsa_float_round_mode_16_64 0
		.amdhsa_float_denorm_mode_32 3
		.amdhsa_float_denorm_mode_16_64 3
		.amdhsa_dx10_clamp 1
		.amdhsa_ieee_mode 1
		.amdhsa_fp16_overflow 0
		.amdhsa_workgroup_processor_mode 1
		.amdhsa_memory_ordered 1
		.amdhsa_forward_progress 0
		.amdhsa_shared_vgpr_count 0
		.amdhsa_exception_fp_ieee_invalid_op 0
		.amdhsa_exception_fp_denorm_src 0
		.amdhsa_exception_fp_ieee_div_zero 0
		.amdhsa_exception_fp_ieee_overflow 0
		.amdhsa_exception_fp_ieee_underflow 0
		.amdhsa_exception_fp_ieee_inexact 0
		.amdhsa_exception_int_div_zero 0
	.end_amdhsa_kernel
	.section	.text._ZN2at6native12_GLOBAL__N_125multi_tensor_apply_kernelINS1_18TensorListMetadataILi2EEENS1_22TernaryOpScalarFunctorIN3c107complexIdEELi2ELi2ELi0EEEJNS0_11LerpFunctorIS8_EES8_EEEvT_T0_DpT1_,"axG",@progbits,_ZN2at6native12_GLOBAL__N_125multi_tensor_apply_kernelINS1_18TensorListMetadataILi2EEENS1_22TernaryOpScalarFunctorIN3c107complexIdEELi2ELi2ELi0EEEJNS0_11LerpFunctorIS8_EES8_EEEvT_T0_DpT1_,comdat
.Lfunc_end20:
	.size	_ZN2at6native12_GLOBAL__N_125multi_tensor_apply_kernelINS1_18TensorListMetadataILi2EEENS1_22TernaryOpScalarFunctorIN3c107complexIdEELi2ELi2ELi0EEEJNS0_11LerpFunctorIS8_EES8_EEEvT_T0_DpT1_, .Lfunc_end20-_ZN2at6native12_GLOBAL__N_125multi_tensor_apply_kernelINS1_18TensorListMetadataILi2EEENS1_22TernaryOpScalarFunctorIN3c107complexIdEELi2ELi2ELi0EEEJNS0_11LerpFunctorIS8_EES8_EEEvT_T0_DpT1_
                                        ; -- End function
	.section	.AMDGPU.csdata,"",@progbits
; Kernel info:
; codeLenInByte = 2876
; NumSgprs: 30
; NumVgprs: 62
; ScratchSize: 0
; MemoryBound: 1
; FloatMode: 240
; IeeeMode: 1
; LDSByteSize: 0 bytes/workgroup (compile time only)
; SGPRBlocks: 3
; VGPRBlocks: 7
; NumSGPRsForWavesPerEU: 30
; NumVGPRsForWavesPerEU: 62
; Occupancy: 16
; WaveLimiterHint : 0
; COMPUTE_PGM_RSRC2:SCRATCH_EN: 0
; COMPUTE_PGM_RSRC2:USER_SGPR: 15
; COMPUTE_PGM_RSRC2:TRAP_HANDLER: 0
; COMPUTE_PGM_RSRC2:TGID_X_EN: 1
; COMPUTE_PGM_RSRC2:TGID_Y_EN: 0
; COMPUTE_PGM_RSRC2:TGID_Z_EN: 0
; COMPUTE_PGM_RSRC2:TIDIG_COMP_CNT: 0
	.section	.text._ZN2at6native12_GLOBAL__N_125multi_tensor_apply_kernelINS1_18TensorListMetadataILi2EEENS1_22TernaryOpScalarFunctorIN3c107complexIfEELi2ELi2ELi0EEEJNS0_11LerpFunctorIS8_EES8_EEEvT_T0_DpT1_,"axG",@progbits,_ZN2at6native12_GLOBAL__N_125multi_tensor_apply_kernelINS1_18TensorListMetadataILi2EEENS1_22TernaryOpScalarFunctorIN3c107complexIfEELi2ELi2ELi0EEEJNS0_11LerpFunctorIS8_EES8_EEEvT_T0_DpT1_,comdat
	.globl	_ZN2at6native12_GLOBAL__N_125multi_tensor_apply_kernelINS1_18TensorListMetadataILi2EEENS1_22TernaryOpScalarFunctorIN3c107complexIfEELi2ELi2ELi0EEEJNS0_11LerpFunctorIS8_EES8_EEEvT_T0_DpT1_ ; -- Begin function _ZN2at6native12_GLOBAL__N_125multi_tensor_apply_kernelINS1_18TensorListMetadataILi2EEENS1_22TernaryOpScalarFunctorIN3c107complexIfEELi2ELi2ELi0EEEJNS0_11LerpFunctorIS8_EES8_EEEvT_T0_DpT1_
	.p2align	8
	.type	_ZN2at6native12_GLOBAL__N_125multi_tensor_apply_kernelINS1_18TensorListMetadataILi2EEENS1_22TernaryOpScalarFunctorIN3c107complexIfEELi2ELi2ELi0EEEJNS0_11LerpFunctorIS8_EES8_EEEvT_T0_DpT1_,@function
_ZN2at6native12_GLOBAL__N_125multi_tensor_apply_kernelINS1_18TensorListMetadataILi2EEENS1_22TernaryOpScalarFunctorIN3c107complexIfEELi2ELi2ELi0EEEJNS0_11LerpFunctorIS8_EES8_EEEvT_T0_DpT1_: ; @_ZN2at6native12_GLOBAL__N_125multi_tensor_apply_kernelINS1_18TensorListMetadataILi2EEENS1_22TernaryOpScalarFunctorIN3c107complexIfEELi2ELi2ELi0EEEJNS0_11LerpFunctorIS8_EES8_EEEvT_T0_DpT1_
; %bb.0:
	v_mov_b32_e32 v1, s15
	s_add_u32 s2, s0, s15
	s_mul_hi_u32 s3, s15, 3
	s_mul_i32 s15, s15, 3
	s_addc_u32 s4, s1, 0
	global_load_u8 v1, v1, s[0:1] offset:1536
	s_add_u32 s2, s2, s15
	s_addc_u32 s3, s4, s3
	s_mov_b32 s19, 0
	s_load_b32 s2, s[2:3], 0x740
	s_mov_b32 s21, s19
	s_mov_b32 s23, s19
	s_waitcnt vmcnt(0)
	v_readfirstlane_b32 s3, v1
	s_delay_alu instid0(VALU_DEP_1)
	s_lshl_b32 s3, s3, 3
	s_clause 0x3
	s_load_b64 s[4:5], s[0:1], s3 offset:0x0
	s_load_b64 s[16:17], s[0:1], s3 offset:0x200
	;; [unrolled: 1-line block ×3, first 2 shown]
	s_load_b64 s[6:7], s[0:1], 0xc50
	s_waitcnt lgkmcnt(0)
	s_ashr_i32 s3, s2, 31
	s_delay_alu instid0(SALU_CYCLE_1) | instskip(NEXT) | instid1(SALU_CYCLE_1)
	s_lshl_b64 s[8:9], s[2:3], 19
	s_add_u32 s12, s4, s8
	s_addc_u32 s13, s5, s9
	s_add_u32 s14, s16, s8
	s_addc_u32 s15, s17, s9
	s_and_b32 s20, s12, 31
	s_and_b32 s22, s10, 3
	;; [unrolled: 1-line block ×3, first 2 shown]
	s_or_b64 s[20:21], s[20:21], s[22:23]
	s_lshl_b64 s[2:3], s[2:3], 16
	s_or_b64 s[18:19], s[18:19], s[20:21]
	s_sub_u32 s10, s10, s2
	s_subb_u32 s11, s11, s3
	s_cmp_eq_u64 s[18:19], 0
	s_mov_b32 s2, -1
	s_cbranch_scc0 .LBB21_21
; %bb.1:
	v_dual_mov_b32 v18, 0 :: v_dual_lshlrev_b32 v17, 2, v0
	s_mov_b32 s18, exec_lo
	s_delay_alu instid0(VALU_DEP_1)
	v_cmpx_gt_i64_e64 s[10:11], v[17:18]
	s_cbranch_execz .LBB21_20
; %bb.2:
	s_load_b32 s2, s[0:1], 0xc64
	v_mul_f32_e64 v1, s7, s7
	v_sub_f32_e64 v21, 1.0, s6
	v_sub_f32_e64 v22, 0, s7
	v_lshlrev_b32_e32 v23, 5, v0
	s_mov_b32 s19, 0
	v_fmac_f32_e64 v1, s6, s6
	s_waitcnt lgkmcnt(0)
	s_and_b32 s3, s2, 0xffff
	s_delay_alu instid0(VALU_DEP_1)
	v_cmp_ngt_f32_e64 s2, 0x3e800000, v1
	v_add_lshl_u32 v17, v0, s3, 2
	s_lshl_b32 s20, s3, 2
	s_lshl_b32 s21, s3, 5
	s_branch .LBB21_4
.LBB21_3:                               ;   in Loop: Header=BB21_4 Depth=1
	v_cmp_le_i64_e32 vcc_lo, s[10:11], v[17:18]
	v_cmp_lt_u64_e64 s3, 0xffff, v[17:18]
	s_clause 0x1
	global_store_b128 v[19:20], v[1:4], off
	global_store_b128 v[19:20], v[9:12], off offset:16
	s_or_b32 s3, vcc_lo, s3
	s_add_u32 s12, s12, s21
	v_add_co_u32 v17, vcc_lo, v17, s20
	s_addc_u32 s13, s13, 0
	s_add_u32 s14, s14, s21
	v_add_co_ci_u32_e32 v18, vcc_lo, 0, v18, vcc_lo
	s_addc_u32 s15, s15, 0
	s_and_b32 s3, exec_lo, s3
	s_delay_alu instid0(SALU_CYCLE_1) | instskip(NEXT) | instid1(SALU_CYCLE_1)
	s_or_b32 s19, s3, s19
	s_and_not1_b32 exec_lo, exec_lo, s19
	s_cbranch_execz .LBB21_20
.LBB21_4:                               ; =>This Inner Loop Header: Depth=1
	v_add_co_u32 v19, s3, s12, v23
	s_delay_alu instid0(VALU_DEP_1) | instskip(SKIP_1) | instid1(VALU_DEP_1)
	v_add_co_ci_u32_e64 v20, null, s13, 0, s3
	v_add_co_u32 v9, s3, s14, v23
	v_add_co_ci_u32_e64 v10, null, s15, 0, s3
	global_load_b128 v[13:16], v[19:20], off
	global_load_b128 v[1:4], v[9:10], off
	global_load_b128 v[5:8], v[19:20], off offset:16
	global_load_b128 v[9:12], v[9:10], off offset:16
	s_and_b32 vcc_lo, exec_lo, s2
	s_waitcnt vmcnt(2)
	v_dual_sub_f32 v24, v1, v13 :: v_dual_sub_f32 v25, v2, v14
	s_cbranch_vccz .LBB21_6
; %bb.5:                                ;   in Loop: Header=BB21_4 Depth=1
	s_delay_alu instid0(VALU_DEP_1) | instskip(SKIP_1) | instid1(VALU_DEP_2)
	v_mul_f32_e32 v26, v22, v25
	v_mul_f32_e32 v27, v21, v25
	v_fma_f32 v26, v21, v24, -v26
	s_delay_alu instid0(VALU_DEP_2) | instskip(NEXT) | instid1(VALU_DEP_1)
	v_fmac_f32_e32 v27, v22, v24
	v_dual_sub_f32 v1, v1, v26 :: v_dual_sub_f32 v2, v2, v27
	s_cbranch_execz .LBB21_7
	s_branch .LBB21_8
.LBB21_6:                               ;   in Loop: Header=BB21_4 Depth=1
                                        ; implicit-def: $vgpr2
.LBB21_7:                               ;   in Loop: Header=BB21_4 Depth=1
	s_delay_alu instid0(VALU_DEP_1) | instskip(NEXT) | instid1(VALU_DEP_1)
	v_mul_f32_e32 v2, s6, v25
	v_dual_mul_f32 v1, s7, v25 :: v_dual_fmac_f32 v2, s7, v24
	s_delay_alu instid0(VALU_DEP_1) | instskip(NEXT) | instid1(VALU_DEP_1)
	v_fma_f32 v1, v24, s6, -v1
	v_dual_add_f32 v2, v14, v2 :: v_dual_add_f32 v1, v13, v1
.LBB21_8:                               ;   in Loop: Header=BB21_4 Depth=1
	v_dual_sub_f32 v13, v3, v15 :: v_dual_sub_f32 v14, v4, v16
	s_and_not1_b32 vcc_lo, exec_lo, s2
	s_cbranch_vccnz .LBB21_10
; %bb.9:                                ;   in Loop: Header=BB21_4 Depth=1
	s_delay_alu instid0(VALU_DEP_1) | instskip(SKIP_1) | instid1(VALU_DEP_2)
	v_mul_f32_e32 v24, v22, v14
	v_mul_f32_e32 v25, v21, v14
	v_fma_f32 v24, v21, v13, -v24
	s_delay_alu instid0(VALU_DEP_2) | instskip(NEXT) | instid1(VALU_DEP_1)
	v_fmac_f32_e32 v25, v22, v13
	v_dual_sub_f32 v3, v3, v24 :: v_dual_sub_f32 v4, v4, v25
	s_cbranch_execz .LBB21_11
	s_branch .LBB21_12
.LBB21_10:                              ;   in Loop: Header=BB21_4 Depth=1
.LBB21_11:                              ;   in Loop: Header=BB21_4 Depth=1
	s_delay_alu instid0(VALU_DEP_1) | instskip(NEXT) | instid1(VALU_DEP_1)
	v_mul_f32_e32 v4, s6, v14
	v_dual_mul_f32 v3, s7, v14 :: v_dual_fmac_f32 v4, s7, v13
	s_delay_alu instid0(VALU_DEP_1) | instskip(NEXT) | instid1(VALU_DEP_1)
	v_fma_f32 v3, v13, s6, -v3
	v_dual_add_f32 v4, v16, v4 :: v_dual_add_f32 v3, v15, v3
.LBB21_12:                              ;   in Loop: Header=BB21_4 Depth=1
	s_waitcnt vmcnt(0)
	v_dual_sub_f32 v13, v9, v5 :: v_dual_sub_f32 v14, v10, v6
	s_and_not1_b32 vcc_lo, exec_lo, s2
	s_cbranch_vccnz .LBB21_14
; %bb.13:                               ;   in Loop: Header=BB21_4 Depth=1
	s_delay_alu instid0(VALU_DEP_1) | instskip(SKIP_1) | instid1(VALU_DEP_2)
	v_mul_f32_e32 v15, v22, v14
	v_mul_f32_e32 v16, v21, v14
	v_fma_f32 v15, v21, v13, -v15
	s_delay_alu instid0(VALU_DEP_1) | instskip(NEXT) | instid1(VALU_DEP_1)
	v_dual_fmac_f32 v16, v22, v13 :: v_dual_sub_f32 v9, v9, v15
	v_sub_f32_e32 v10, v10, v16
	s_cbranch_execz .LBB21_15
	s_branch .LBB21_16
.LBB21_14:                              ;   in Loop: Header=BB21_4 Depth=1
                                        ; implicit-def: $vgpr10
.LBB21_15:                              ;   in Loop: Header=BB21_4 Depth=1
	s_delay_alu instid0(VALU_DEP_1) | instskip(NEXT) | instid1(VALU_DEP_1)
	v_mul_f32_e32 v10, s6, v14
	v_dual_mul_f32 v9, s7, v14 :: v_dual_fmac_f32 v10, s7, v13
	s_delay_alu instid0(VALU_DEP_1) | instskip(NEXT) | instid1(VALU_DEP_1)
	v_fma_f32 v9, v13, s6, -v9
	v_dual_add_f32 v10, v6, v10 :: v_dual_add_f32 v9, v5, v9
.LBB21_16:                              ;   in Loop: Header=BB21_4 Depth=1
	v_dual_sub_f32 v5, v11, v7 :: v_dual_sub_f32 v6, v12, v8
	s_and_not1_b32 vcc_lo, exec_lo, s2
	s_cbranch_vccnz .LBB21_18
; %bb.17:                               ;   in Loop: Header=BB21_4 Depth=1
	s_delay_alu instid0(VALU_DEP_1) | instskip(NEXT) | instid1(VALU_DEP_1)
	v_mul_f32_e32 v13, v22, v6
	v_fma_f32 v13, v21, v5, -v13
	s_delay_alu instid0(VALU_DEP_1) | instskip(NEXT) | instid1(VALU_DEP_1)
	v_dual_mul_f32 v14, v21, v6 :: v_dual_sub_f32 v11, v11, v13
	v_fmac_f32_e32 v14, v22, v5
	s_delay_alu instid0(VALU_DEP_1)
	v_sub_f32_e32 v12, v12, v14
	s_cbranch_execnz .LBB21_3
	s_branch .LBB21_19
.LBB21_18:                              ;   in Loop: Header=BB21_4 Depth=1
.LBB21_19:                              ;   in Loop: Header=BB21_4 Depth=1
	s_delay_alu instid0(VALU_DEP_1) | instskip(SKIP_1) | instid1(VALU_DEP_1)
	v_mul_f32_e32 v11, s7, v6
	v_mul_f32_e32 v6, s6, v6
	v_fmac_f32_e32 v6, s7, v5
	s_delay_alu instid0(VALU_DEP_3) | instskip(NEXT) | instid1(VALU_DEP_1)
	v_fma_f32 v11, v5, s6, -v11
	v_dual_add_f32 v12, v8, v6 :: v_dual_add_f32 v11, v7, v11
	s_branch .LBB21_3
.LBB21_20:
	s_or_b32 exec_lo, exec_lo, s18
	s_mov_b32 s2, 0
.LBB21_21:
	s_delay_alu instid0(SALU_CYCLE_1)
	s_and_not1_b32 vcc_lo, exec_lo, s2
	s_cbranch_vccnz .LBB21_57
; %bb.22:
	v_cmp_lt_i64_e64 s2, s[10:11], 1
	s_delay_alu instid0(VALU_DEP_1)
	s_and_b32 vcc_lo, exec_lo, s2
	s_cbranch_vccnz .LBB21_57
; %bb.23:
	s_load_b32 s1, s[0:1], 0xc64
	v_mov_b32_e32 v1, 0
	v_mul_f32_e64 v4, s7, s7
	v_lshl_or_b32 v2, v0, 3, 4
	v_cmp_gt_u64_e64 s2, 0x10000, s[10:11]
	v_sub_f32_e64 v18, 1.0, s6
	v_mov_b32_e32 v3, v1
	v_fmac_f32_e64 v4, s6, s6
	v_add_co_u32 v20, s0, s16, v2
	s_delay_alu instid0(VALU_DEP_1) | instskip(NEXT) | instid1(VALU_DEP_3)
	v_add_co_ci_u32_e64 v21, null, s17, 0, s0
	v_cmp_ngt_f32_e64 s0, 0x3e800000, v4
	v_sub_f32_e64 v19, 0, s7
	s_mov_b32 s13, 0
	s_waitcnt lgkmcnt(0)
	s_and_b32 s18, s1, 0xffff
	s_and_b32 s1, s2, exec_lo
	v_add_lshl_u32 v6, v0, s18, 3
	v_mad_u64_u32 v[4:5], null, s18, 24, v[2:3]
	v_add_co_u32 v22, s1, s4, v2
	s_delay_alu instid0(VALU_DEP_1) | instskip(NEXT) | instid1(VALU_DEP_4)
	v_add_co_ci_u32_e64 v23, null, s5, 0, s1
	v_add_co_u32 v24, s1, s4, v6
	s_delay_alu instid0(VALU_DEP_1)
	v_add_co_ci_u32_e64 v25, null, s5, 0, s1
	v_add_co_u32 v28, s1, s16, v6
	s_cselect_b32 s15, s11, 0
	s_cselect_b32 s14, s10, 0x10000
	v_add_co_ci_u32_e64 v29, null, s17, 0, s1
	s_lshl_b32 s1, s18, 4
	v_add_co_u32 v26, vcc_lo, s16, v4
	v_add_co_u32 v2, s1, v2, s1
	v_add_co_ci_u32_e32 v27, vcc_lo, s17, v5, vcc_lo
	v_add_co_ci_u32_e64 v3, null, 0, 0, s1
	v_add_co_u32 v30, vcc_lo, s4, v4
	v_add_co_ci_u32_e32 v31, vcc_lo, s5, v5, vcc_lo
	v_add_co_u32 v32, vcc_lo, s16, v2
	s_delay_alu instid0(VALU_DEP_4)
	v_add_co_ci_u32_e32 v33, vcc_lo, s17, v3, vcc_lo
	v_add_co_u32 v34, vcc_lo, s4, v2
	v_add_co_ci_u32_e32 v35, vcc_lo, s5, v3, vcc_lo
	s_lshl_b32 s12, s18, 2
	s_lshl_b32 s19, s18, 1
	s_mul_i32 s20, s18, 3
	s_lshl_b32 s5, s18, 5
	s_mov_b64 s[16:17], s[12:13]
	s_branch .LBB21_25
.LBB21_24:                              ;   in Loop: Header=BB21_25 Depth=1
	s_or_b32 exec_lo, exec_lo, s1
	v_add_co_u32 v0, vcc_lo, v0, s12
	v_add_co_ci_u32_e32 v1, vcc_lo, 0, v1, vcc_lo
	v_add_co_u32 v20, vcc_lo, v20, s5
	v_add_co_ci_u32_e32 v21, vcc_lo, 0, v21, vcc_lo
	;; [unrolled: 2-line block ×7, first 2 shown]
	v_cmp_ge_i64_e64 s1, s[16:17], s[10:11]
	v_cmp_lt_u64_e64 s2, 0xffff, s[16:17]
	v_add_co_u32 v32, vcc_lo, v32, s5
	v_add_co_ci_u32_e32 v33, vcc_lo, 0, v33, vcc_lo
	v_add_co_u32 v34, vcc_lo, v34, s5
	v_add_co_ci_u32_e32 v35, vcc_lo, 0, v35, vcc_lo
	s_or_b32 s1, s1, s2
	s_add_u32 s16, s16, s12
	s_addc_u32 s17, s17, 0
	s_and_b32 vcc_lo, exec_lo, s1
	s_cbranch_vccnz .LBB21_57
.LBB21_25:                              ; =>This Inner Loop Header: Depth=1
	v_cmp_gt_u64_e64 s1, s[14:15], v[0:1]
	v_dual_mov_b32 v11, 0 :: v_dual_mov_b32 v10, 0
	v_dual_mov_b32 v13, 0 :: v_dual_mov_b32 v12, 0
	s_delay_alu instid0(VALU_DEP_3)
	s_and_saveexec_b32 s2, s1
	s_cbranch_execz .LBB21_27
; %bb.26:                               ;   in Loop: Header=BB21_25 Depth=1
	v_add_co_u32 v2, vcc_lo, v22, s8
	v_add_co_ci_u32_e32 v3, vcc_lo, s9, v23, vcc_lo
	v_add_co_u32 v4, vcc_lo, v20, s8
	v_add_co_ci_u32_e32 v5, vcc_lo, s9, v21, vcc_lo
	global_load_b64 v[12:13], v[2:3], off offset:-4
	global_load_b64 v[10:11], v[4:5], off offset:-4
.LBB21_27:                              ;   in Loop: Header=BB21_25 Depth=1
	s_or_b32 exec_lo, exec_lo, s2
	v_add_co_u32 v4, vcc_lo, s18, v0
	v_add_co_ci_u32_e32 v5, vcc_lo, 0, v1, vcc_lo
	v_dual_mov_b32 v3, 0 :: v_dual_mov_b32 v16, 0
	v_dual_mov_b32 v17, 0 :: v_dual_mov_b32 v8, 0
	s_delay_alu instid0(VALU_DEP_3) | instskip(SKIP_1) | instid1(VALU_DEP_2)
	v_cmp_gt_u64_e64 s2, s[14:15], v[4:5]
	v_mov_b32_e32 v9, 0
	s_and_saveexec_b32 s3, s2
	s_cbranch_execz .LBB21_29
; %bb.28:                               ;   in Loop: Header=BB21_25 Depth=1
	v_add_co_u32 v4, vcc_lo, v24, s8
	v_add_co_ci_u32_e32 v5, vcc_lo, s9, v25, vcc_lo
	v_add_co_u32 v6, vcc_lo, v28, s8
	v_add_co_ci_u32_e32 v7, vcc_lo, s9, v29, vcc_lo
	global_load_b64 v[8:9], v[4:5], off
	global_load_b64 v[16:17], v[6:7], off
.LBB21_29:                              ;   in Loop: Header=BB21_25 Depth=1
	s_or_b32 exec_lo, exec_lo, s3
	v_add_co_u32 v4, vcc_lo, s19, v0
	v_add_co_ci_u32_e32 v5, vcc_lo, 0, v1, vcc_lo
	v_dual_mov_b32 v2, 0 :: v_dual_mov_b32 v7, 0
	v_mov_b32_e32 v6, 0
	s_delay_alu instid0(VALU_DEP_3) | instskip(NEXT) | instid1(VALU_DEP_1)
	v_cmp_gt_u64_e64 s3, s[14:15], v[4:5]
	s_and_saveexec_b32 s4, s3
	s_cbranch_execz .LBB21_31
; %bb.30:                               ;   in Loop: Header=BB21_25 Depth=1
	v_add_co_u32 v2, vcc_lo, v34, s8
	v_add_co_ci_u32_e32 v3, vcc_lo, s9, v35, vcc_lo
	v_add_co_u32 v4, vcc_lo, v32, s8
	v_add_co_ci_u32_e32 v5, vcc_lo, s9, v33, vcc_lo
	global_load_b64 v[6:7], v[2:3], off offset:-4
	global_load_b64 v[2:3], v[4:5], off offset:-4
.LBB21_31:                              ;   in Loop: Header=BB21_25 Depth=1
	s_or_b32 exec_lo, exec_lo, s4
	v_add_co_u32 v4, vcc_lo, s20, v0
	v_add_co_ci_u32_e32 v5, vcc_lo, 0, v1, vcc_lo
	v_dual_mov_b32 v15, 0 :: v_dual_mov_b32 v14, 0
	s_delay_alu instid0(VALU_DEP_2) | instskip(SKIP_1) | instid1(VALU_DEP_2)
	v_cmp_gt_u64_e64 s4, s[14:15], v[4:5]
	v_dual_mov_b32 v5, 0 :: v_dual_mov_b32 v4, 0
	s_and_saveexec_b32 s13, s4
	s_cbranch_execz .LBB21_33
; %bb.32:                               ;   in Loop: Header=BB21_25 Depth=1
	v_add_co_u32 v4, vcc_lo, v30, s8
	v_add_co_ci_u32_e32 v5, vcc_lo, s9, v31, vcc_lo
	v_add_co_u32 v14, vcc_lo, v26, s8
	v_add_co_ci_u32_e32 v15, vcc_lo, s9, v27, vcc_lo
	global_load_b64 v[4:5], v[4:5], off offset:-4
	global_load_b64 v[14:15], v[14:15], off offset:-4
.LBB21_33:                              ;   in Loop: Header=BB21_25 Depth=1
	s_or_b32 exec_lo, exec_lo, s13
	s_waitcnt vmcnt(0)
	v_dual_sub_f32 v37, v10, v12 :: v_dual_sub_f32 v36, v11, v13
	s_and_b32 vcc_lo, exec_lo, s0
	s_cbranch_vccz .LBB21_49
; %bb.34:                               ;   in Loop: Header=BB21_25 Depth=1
	s_delay_alu instid0(VALU_DEP_1) | instskip(NEXT) | instid1(VALU_DEP_1)
	v_mul_f32_e32 v38, v19, v36
	v_fma_f32 v38, v18, v37, -v38
	s_delay_alu instid0(VALU_DEP_1) | instskip(NEXT) | instid1(VALU_DEP_1)
	v_dual_mul_f32 v39, v19, v37 :: v_dual_sub_f32 v10, v10, v38
	v_fmac_f32_e32 v39, v18, v36
	s_delay_alu instid0(VALU_DEP_1)
	v_sub_f32_e32 v11, v11, v39
	s_cbranch_execnz .LBB21_36
.LBB21_35:                              ;   in Loop: Header=BB21_25 Depth=1
	s_delay_alu instid0(VALU_DEP_1) | instskip(NEXT) | instid1(VALU_DEP_1)
	v_dual_mul_f32 v10, s7, v36 :: v_dual_mul_f32 v11, s7, v37
	v_fma_f32 v10, v37, s6, -v10
	s_delay_alu instid0(VALU_DEP_1) | instskip(NEXT) | instid1(VALU_DEP_1)
	v_dual_fmac_f32 v11, s6, v36 :: v_dual_add_f32 v10, v12, v10
	v_add_f32_e32 v11, v13, v11
.LBB21_36:                              ;   in Loop: Header=BB21_25 Depth=1
	v_dual_sub_f32 v37, v16, v8 :: v_dual_sub_f32 v36, v17, v9
	s_and_not1_b32 vcc_lo, exec_lo, s0
	s_cbranch_vccnz .LBB21_50
; %bb.37:                               ;   in Loop: Header=BB21_25 Depth=1
	s_delay_alu instid0(VALU_DEP_1) | instskip(NEXT) | instid1(VALU_DEP_1)
	v_mul_f32_e32 v13, v19, v37
	v_fmac_f32_e32 v13, v18, v36
	s_delay_alu instid0(VALU_DEP_1) | instskip(NEXT) | instid1(VALU_DEP_1)
	v_dual_mul_f32 v12, v19, v36 :: v_dual_sub_f32 v13, v17, v13
	v_fma_f32 v12, v18, v37, -v12
	s_delay_alu instid0(VALU_DEP_1)
	v_sub_f32_e32 v12, v16, v12
	s_cbranch_execnz .LBB21_39
.LBB21_38:                              ;   in Loop: Header=BB21_25 Depth=1
	s_delay_alu instid0(VALU_DEP_1) | instskip(NEXT) | instid1(VALU_DEP_1)
	v_dual_mul_f32 v12, s7, v36 :: v_dual_mul_f32 v13, s7, v37
	v_fma_f32 v12, v37, s6, -v12
	s_delay_alu instid0(VALU_DEP_2) | instskip(NEXT) | instid1(VALU_DEP_1)
	v_fmac_f32_e32 v13, s6, v36
	v_dual_add_f32 v12, v8, v12 :: v_dual_add_f32 v13, v9, v13
.LBB21_39:                              ;   in Loop: Header=BB21_25 Depth=1
	v_dual_sub_f32 v9, v2, v6 :: v_dual_sub_f32 v8, v3, v7
	s_and_not1_b32 vcc_lo, exec_lo, s0
	s_cbranch_vccnz .LBB21_51
; %bb.40:                               ;   in Loop: Header=BB21_25 Depth=1
	s_delay_alu instid0(VALU_DEP_1) | instskip(NEXT) | instid1(VALU_DEP_1)
	v_mul_f32_e32 v16, v19, v8
	v_fma_f32 v16, v18, v9, -v16
	s_delay_alu instid0(VALU_DEP_1) | instskip(NEXT) | instid1(VALU_DEP_1)
	v_dual_mul_f32 v17, v19, v9 :: v_dual_sub_f32 v2, v2, v16
	v_fmac_f32_e32 v17, v18, v8
	s_delay_alu instid0(VALU_DEP_1)
	v_sub_f32_e32 v3, v3, v17
	s_cbranch_execnz .LBB21_42
.LBB21_41:                              ;   in Loop: Header=BB21_25 Depth=1
	s_delay_alu instid0(VALU_DEP_1) | instskip(NEXT) | instid1(VALU_DEP_1)
	v_dual_mul_f32 v2, s7, v8 :: v_dual_mul_f32 v3, s7, v9
	v_fma_f32 v2, v9, s6, -v2
	s_delay_alu instid0(VALU_DEP_1) | instskip(NEXT) | instid1(VALU_DEP_1)
	v_dual_fmac_f32 v3, s6, v8 :: v_dual_add_f32 v2, v6, v2
	v_add_f32_e32 v3, v7, v3
.LBB21_42:                              ;   in Loop: Header=BB21_25 Depth=1
	v_dual_sub_f32 v9, v14, v4 :: v_dual_sub_f32 v8, v15, v5
	s_and_not1_b32 vcc_lo, exec_lo, s0
	s_cbranch_vccnz .LBB21_52
; %bb.43:                               ;   in Loop: Header=BB21_25 Depth=1
	s_delay_alu instid0(VALU_DEP_1) | instskip(NEXT) | instid1(VALU_DEP_1)
	v_mul_f32_e32 v6, v19, v8
	v_fma_f32 v6, v18, v9, -v6
	s_delay_alu instid0(VALU_DEP_1) | instskip(NEXT) | instid1(VALU_DEP_1)
	v_dual_mul_f32 v7, v19, v9 :: v_dual_sub_f32 v6, v14, v6
	v_fmac_f32_e32 v7, v18, v8
	s_delay_alu instid0(VALU_DEP_1)
	v_sub_f32_e32 v7, v15, v7
	s_cbranch_execnz .LBB21_45
.LBB21_44:                              ;   in Loop: Header=BB21_25 Depth=1
	s_delay_alu instid0(VALU_DEP_1) | instskip(NEXT) | instid1(VALU_DEP_1)
	v_dual_mul_f32 v6, s7, v8 :: v_dual_mul_f32 v7, s7, v9
	v_fma_f32 v6, v9, s6, -v6
	s_delay_alu instid0(VALU_DEP_1) | instskip(NEXT) | instid1(VALU_DEP_1)
	v_dual_fmac_f32 v7, s6, v8 :: v_dual_add_f32 v6, v4, v6
	v_add_f32_e32 v7, v5, v7
.LBB21_45:                              ;   in Loop: Header=BB21_25 Depth=1
	s_and_saveexec_b32 s13, s1
	s_delay_alu instid0(SALU_CYCLE_1)
	s_xor_b32 s1, exec_lo, s13
	s_cbranch_execnz .LBB21_53
; %bb.46:                               ;   in Loop: Header=BB21_25 Depth=1
	s_or_b32 exec_lo, exec_lo, s1
	s_and_saveexec_b32 s1, s2
	s_cbranch_execnz .LBB21_54
.LBB21_47:                              ;   in Loop: Header=BB21_25 Depth=1
	s_or_b32 exec_lo, exec_lo, s1
	s_and_saveexec_b32 s1, s3
	s_cbranch_execnz .LBB21_55
.LBB21_48:                              ;   in Loop: Header=BB21_25 Depth=1
	s_or_b32 exec_lo, exec_lo, s1
	s_and_saveexec_b32 s1, s4
	s_cbranch_execz .LBB21_24
	s_branch .LBB21_56
.LBB21_49:                              ;   in Loop: Header=BB21_25 Depth=1
                                        ; implicit-def: $vgpr11
	s_branch .LBB21_35
.LBB21_50:                              ;   in Loop: Header=BB21_25 Depth=1
                                        ; implicit-def: $vgpr13
	s_branch .LBB21_38
.LBB21_51:                              ;   in Loop: Header=BB21_25 Depth=1
                                        ; implicit-def: $vgpr3
	s_branch .LBB21_41
.LBB21_52:                              ;   in Loop: Header=BB21_25 Depth=1
                                        ; implicit-def: $vgpr7
	s_branch .LBB21_44
.LBB21_53:                              ;   in Loop: Header=BB21_25 Depth=1
	v_add_co_u32 v4, vcc_lo, v22, s8
	v_add_co_ci_u32_e32 v5, vcc_lo, s9, v23, vcc_lo
	global_store_b64 v[4:5], v[10:11], off offset:-4
	s_or_b32 exec_lo, exec_lo, s1
	s_and_saveexec_b32 s1, s2
	s_cbranch_execz .LBB21_47
.LBB21_54:                              ;   in Loop: Header=BB21_25 Depth=1
	v_add_co_u32 v4, vcc_lo, v24, s8
	v_add_co_ci_u32_e32 v5, vcc_lo, s9, v25, vcc_lo
	global_store_b64 v[4:5], v[12:13], off
	s_or_b32 exec_lo, exec_lo, s1
	s_and_saveexec_b32 s1, s3
	s_cbranch_execz .LBB21_48
.LBB21_55:                              ;   in Loop: Header=BB21_25 Depth=1
	v_add_co_u32 v4, vcc_lo, v34, s8
	v_add_co_ci_u32_e32 v5, vcc_lo, s9, v35, vcc_lo
	global_store_b64 v[4:5], v[2:3], off offset:-4
	s_or_b32 exec_lo, exec_lo, s1
	s_and_saveexec_b32 s1, s4
	s_cbranch_execz .LBB21_24
.LBB21_56:                              ;   in Loop: Header=BB21_25 Depth=1
	v_add_co_u32 v2, vcc_lo, v30, s8
	v_add_co_ci_u32_e32 v3, vcc_lo, s9, v31, vcc_lo
	global_store_b64 v[2:3], v[6:7], off offset:-4
	s_branch .LBB21_24
.LBB21_57:
	s_nop 0
	s_sendmsg sendmsg(MSG_DEALLOC_VGPRS)
	s_endpgm
	.section	.rodata,"a",@progbits
	.p2align	6, 0x0
	.amdhsa_kernel _ZN2at6native12_GLOBAL__N_125multi_tensor_apply_kernelINS1_18TensorListMetadataILi2EEENS1_22TernaryOpScalarFunctorIN3c107complexIfEELi2ELi2ELi0EEEJNS0_11LerpFunctorIS8_EES8_EEEvT_T0_DpT1_
		.amdhsa_group_segment_fixed_size 0
		.amdhsa_private_segment_fixed_size 0
		.amdhsa_kernarg_size 3416
		.amdhsa_user_sgpr_count 15
		.amdhsa_user_sgpr_dispatch_ptr 0
		.amdhsa_user_sgpr_queue_ptr 0
		.amdhsa_user_sgpr_kernarg_segment_ptr 1
		.amdhsa_user_sgpr_dispatch_id 0
		.amdhsa_user_sgpr_private_segment_size 0
		.amdhsa_wavefront_size32 1
		.amdhsa_uses_dynamic_stack 0
		.amdhsa_enable_private_segment 0
		.amdhsa_system_sgpr_workgroup_id_x 1
		.amdhsa_system_sgpr_workgroup_id_y 0
		.amdhsa_system_sgpr_workgroup_id_z 0
		.amdhsa_system_sgpr_workgroup_info 0
		.amdhsa_system_vgpr_workitem_id 0
		.amdhsa_next_free_vgpr 40
		.amdhsa_next_free_sgpr 24
		.amdhsa_reserve_vcc 1
		.amdhsa_float_round_mode_32 0
		.amdhsa_float_round_mode_16_64 0
		.amdhsa_float_denorm_mode_32 3
		.amdhsa_float_denorm_mode_16_64 3
		.amdhsa_dx10_clamp 1
		.amdhsa_ieee_mode 1
		.amdhsa_fp16_overflow 0
		.amdhsa_workgroup_processor_mode 1
		.amdhsa_memory_ordered 1
		.amdhsa_forward_progress 0
		.amdhsa_shared_vgpr_count 0
		.amdhsa_exception_fp_ieee_invalid_op 0
		.amdhsa_exception_fp_denorm_src 0
		.amdhsa_exception_fp_ieee_div_zero 0
		.amdhsa_exception_fp_ieee_overflow 0
		.amdhsa_exception_fp_ieee_underflow 0
		.amdhsa_exception_fp_ieee_inexact 0
		.amdhsa_exception_int_div_zero 0
	.end_amdhsa_kernel
	.section	.text._ZN2at6native12_GLOBAL__N_125multi_tensor_apply_kernelINS1_18TensorListMetadataILi2EEENS1_22TernaryOpScalarFunctorIN3c107complexIfEELi2ELi2ELi0EEEJNS0_11LerpFunctorIS8_EES8_EEEvT_T0_DpT1_,"axG",@progbits,_ZN2at6native12_GLOBAL__N_125multi_tensor_apply_kernelINS1_18TensorListMetadataILi2EEENS1_22TernaryOpScalarFunctorIN3c107complexIfEELi2ELi2ELi0EEEJNS0_11LerpFunctorIS8_EES8_EEEvT_T0_DpT1_,comdat
.Lfunc_end21:
	.size	_ZN2at6native12_GLOBAL__N_125multi_tensor_apply_kernelINS1_18TensorListMetadataILi2EEENS1_22TernaryOpScalarFunctorIN3c107complexIfEELi2ELi2ELi0EEEJNS0_11LerpFunctorIS8_EES8_EEEvT_T0_DpT1_, .Lfunc_end21-_ZN2at6native12_GLOBAL__N_125multi_tensor_apply_kernelINS1_18TensorListMetadataILi2EEENS1_22TernaryOpScalarFunctorIN3c107complexIfEELi2ELi2ELi0EEEJNS0_11LerpFunctorIS8_EES8_EEEvT_T0_DpT1_
                                        ; -- End function
	.section	.AMDGPU.csdata,"",@progbits
; Kernel info:
; codeLenInByte = 2304
; NumSgprs: 26
; NumVgprs: 40
; ScratchSize: 0
; MemoryBound: 1
; FloatMode: 240
; IeeeMode: 1
; LDSByteSize: 0 bytes/workgroup (compile time only)
; SGPRBlocks: 3
; VGPRBlocks: 4
; NumSGPRsForWavesPerEU: 26
; NumVGPRsForWavesPerEU: 40
; Occupancy: 16
; WaveLimiterHint : 0
; COMPUTE_PGM_RSRC2:SCRATCH_EN: 0
; COMPUTE_PGM_RSRC2:USER_SGPR: 15
; COMPUTE_PGM_RSRC2:TRAP_HANDLER: 0
; COMPUTE_PGM_RSRC2:TGID_X_EN: 1
; COMPUTE_PGM_RSRC2:TGID_Y_EN: 0
; COMPUTE_PGM_RSRC2:TGID_Z_EN: 0
; COMPUTE_PGM_RSRC2:TIDIG_COMP_CNT: 0
	.section	.text._ZN2at6native12_GLOBAL__N_125multi_tensor_apply_kernelINS1_18TensorListMetadataILi2EEENS1_22TernaryOpScalarFunctorIN3c104HalfELi2ELi2ELi0EEEJNS0_11LerpFunctorIfEEfEEEvT_T0_DpT1_,"axG",@progbits,_ZN2at6native12_GLOBAL__N_125multi_tensor_apply_kernelINS1_18TensorListMetadataILi2EEENS1_22TernaryOpScalarFunctorIN3c104HalfELi2ELi2ELi0EEEJNS0_11LerpFunctorIfEEfEEEvT_T0_DpT1_,comdat
	.globl	_ZN2at6native12_GLOBAL__N_125multi_tensor_apply_kernelINS1_18TensorListMetadataILi2EEENS1_22TernaryOpScalarFunctorIN3c104HalfELi2ELi2ELi0EEEJNS0_11LerpFunctorIfEEfEEEvT_T0_DpT1_ ; -- Begin function _ZN2at6native12_GLOBAL__N_125multi_tensor_apply_kernelINS1_18TensorListMetadataILi2EEENS1_22TernaryOpScalarFunctorIN3c104HalfELi2ELi2ELi0EEEJNS0_11LerpFunctorIfEEfEEEvT_T0_DpT1_
	.p2align	8
	.type	_ZN2at6native12_GLOBAL__N_125multi_tensor_apply_kernelINS1_18TensorListMetadataILi2EEENS1_22TernaryOpScalarFunctorIN3c104HalfELi2ELi2ELi0EEEJNS0_11LerpFunctorIfEEfEEEvT_T0_DpT1_,@function
_ZN2at6native12_GLOBAL__N_125multi_tensor_apply_kernelINS1_18TensorListMetadataILi2EEENS1_22TernaryOpScalarFunctorIN3c104HalfELi2ELi2ELi0EEEJNS0_11LerpFunctorIfEEfEEEvT_T0_DpT1_: ; @_ZN2at6native12_GLOBAL__N_125multi_tensor_apply_kernelINS1_18TensorListMetadataILi2EEENS1_22TernaryOpScalarFunctorIN3c104HalfELi2ELi2ELi0EEEJNS0_11LerpFunctorIfEEfEEEvT_T0_DpT1_
; %bb.0:
	v_mov_b32_e32 v1, s15
	s_add_u32 s2, s0, s15
	s_mul_hi_u32 s3, s15, 3
	s_mul_i32 s15, s15, 3
	s_addc_u32 s4, s1, 0
	global_load_u8 v1, v1, s[0:1] offset:1536
	s_add_u32 s2, s2, s15
	s_addc_u32 s3, s4, s3
	s_mov_b32 s19, 0
	s_load_b32 s2, s[2:3], 0x740
	s_mov_b32 s21, s19
	s_mov_b32 s23, s19
	s_waitcnt vmcnt(0)
	v_readfirstlane_b32 s3, v1
	s_delay_alu instid0(VALU_DEP_1)
	s_lshl_b32 s3, s3, 3
	s_clause 0x3
	s_load_b64 s[12:13], s[0:1], s3 offset:0x0
	s_load_b64 s[14:15], s[0:1], s3 offset:0x200
	;; [unrolled: 1-line block ×3, first 2 shown]
	s_load_b32 s5, s[0:1], 0xc4c
	s_waitcnt lgkmcnt(0)
	s_ashr_i32 s3, s2, 31
	s_delay_alu instid0(SALU_CYCLE_1) | instskip(NEXT) | instid1(SALU_CYCLE_1)
	s_lshl_b64 s[6:7], s[2:3], 17
	s_add_u32 s10, s12, s6
	s_addc_u32 s11, s13, s7
	s_and_b32 s18, s10, 7
	s_add_u32 s16, s14, s6
	s_addc_u32 s17, s15, s7
	s_and_b32 s20, s8, 3
	s_and_b32 s22, s16, 7
	s_or_b64 s[18:19], s[18:19], s[20:21]
	s_lshl_b64 s[2:3], s[2:3], 16
	s_or_b64 s[18:19], s[22:23], s[18:19]
	s_sub_u32 s8, s8, s2
	s_subb_u32 s9, s9, s3
	s_cmp_eq_u64 s[18:19], 0
	s_mov_b32 s2, -1
	s_cbranch_scc0 .LBB22_5
; %bb.1:
	v_dual_mov_b32 v2, 0 :: v_dual_lshlrev_b32 v1, 2, v0
	s_mov_b32 s18, exec_lo
	s_delay_alu instid0(VALU_DEP_1)
	v_cmpx_gt_i64_e64 s[8:9], v[1:2]
	s_cbranch_execz .LBB22_4
; %bb.2:
	s_load_b32 s2, s[0:1], 0xc5c
	v_cmp_lt_f32_e64 vcc_lo, |s5|, 0.5
	v_sub_f32_e64 v3, 1.0, s5
	v_lshlrev_b32_e32 v4, 3, v0
	s_mov_b32 s19, 0
	s_waitcnt lgkmcnt(0)
	s_and_b32 s2, s2, 0xffff
	s_delay_alu instid0(SALU_CYCLE_1)
	v_add_lshl_u32 v1, v0, s2, 2
	s_lshl_b32 s20, s2, 2
	s_lshl_b32 s21, s2, 3
.LBB22_3:                               ; =>This Inner Loop Header: Depth=1
	v_add_co_u32 v5, s2, s10, v4
	s_delay_alu instid0(VALU_DEP_1) | instskip(SKIP_1) | instid1(VALU_DEP_1)
	v_add_co_ci_u32_e64 v6, null, s11, 0, s2
	v_add_co_u32 v7, s2, s16, v4
	v_add_co_ci_u32_e64 v8, null, s17, 0, s2
	global_load_b64 v[9:10], v[5:6], off
	global_load_b64 v[7:8], v[7:8], off
	v_cmp_le_i64_e64 s2, s[8:9], v[1:2]
	v_cmp_lt_u64_e64 s3, 0xffff, v[1:2]
	v_add_co_u32 v1, s4, v1, s20
	s_delay_alu instid0(VALU_DEP_1) | instskip(NEXT) | instid1(VALU_DEP_3)
	v_add_co_ci_u32_e64 v2, s4, 0, v2, s4
	s_or_b32 s2, s2, s3
	s_add_u32 s10, s10, s21
	s_addc_u32 s11, s11, 0
	s_add_u32 s16, s16, s21
	s_addc_u32 s17, s17, 0
	s_and_b32 s2, exec_lo, s2
	s_delay_alu instid0(SALU_CYCLE_1)
	s_or_b32 s19, s2, s19
	s_waitcnt vmcnt(1)
	v_lshrrev_b32_e32 v11, 16, v9
	v_lshrrev_b32_e32 v12, 16, v10
	v_cvt_f32_f16_e32 v13, v9
	s_waitcnt vmcnt(0)
	v_cvt_f32_f16_e32 v14, v7
	v_lshrrev_b32_e32 v15, 16, v7
	v_lshrrev_b32_e32 v16, 16, v8
	v_cvt_f32_f16_e32 v17, v10
	v_cvt_f32_f16_e32 v18, v8
	;; [unrolled: 1-line block ×4, first 2 shown]
	v_sub_f32_e32 v13, v14, v13
	v_cvt_f32_f16_e32 v14, v15
	v_cvt_f32_f16_e32 v15, v16
	v_sub_f32_e32 v16, v18, v17
	s_delay_alu instid0(VALU_DEP_2) | instskip(NEXT) | instid1(VALU_DEP_2)
	v_sub_f32_e32 v12, v15, v12
	v_fma_mix_f32 v15, -v3, v16, v8 op_sel_hi:[0,0,1]
	v_sub_f32_e32 v11, v14, v11
	v_fma_mix_f32 v14, v16, s5, v10 op_sel_hi:[0,0,1]
	v_fma_mix_f32 v17, v13, s5, v9 op_sel_hi:[0,0,1]
	v_fma_mix_f32 v13, -v3, v13, v7 op_sel_hi:[0,0,1]
	v_fma_mix_f32 v10, v12, s5, v10 op_sel:[0,0,1] op_sel_hi:[0,0,1]
	v_fma_mix_f32 v8, -v3, v12, v8 op_sel:[0,0,1] op_sel_hi:[0,0,1]
	v_cndmask_b32_e32 v12, v15, v14, vcc_lo
	v_fma_mix_f32 v9, v11, s5, v9 op_sel:[0,0,1] op_sel_hi:[0,0,1]
	v_fma_mix_f32 v7, -v3, v11, v7 op_sel:[0,0,1] op_sel_hi:[0,0,1]
	s_delay_alu instid0(VALU_DEP_4) | instskip(NEXT) | instid1(VALU_DEP_4)
	v_dual_cndmask_b32 v11, v13, v17 :: v_dual_cndmask_b32 v8, v8, v10
	v_cvt_f16_f32_e32 v10, v12
	s_delay_alu instid0(VALU_DEP_3) | instskip(NEXT) | instid1(VALU_DEP_3)
	v_cndmask_b32_e32 v7, v7, v9, vcc_lo
	v_cvt_f16_f32_e32 v9, v11
	s_delay_alu instid0(VALU_DEP_4) | instskip(NEXT) | instid1(VALU_DEP_3)
	v_cvt_f16_f32_e32 v8, v8
	v_cvt_f16_f32_e32 v7, v7
	s_delay_alu instid0(VALU_DEP_2) | instskip(NEXT) | instid1(VALU_DEP_2)
	v_pack_b32_f16 v8, v10, v8
	v_pack_b32_f16 v7, v9, v7
	global_store_b64 v[5:6], v[7:8], off
	s_and_not1_b32 exec_lo, exec_lo, s19
	s_cbranch_execnz .LBB22_3
.LBB22_4:
	s_or_b32 exec_lo, exec_lo, s18
	s_mov_b32 s2, 0
.LBB22_5:
	s_delay_alu instid0(SALU_CYCLE_1)
	s_and_not1_b32 vcc_lo, exec_lo, s2
	s_cbranch_vccnz .LBB22_25
; %bb.6:
	v_cmp_lt_i64_e64 s2, s[8:9], 1
	s_delay_alu instid0(VALU_DEP_1)
	s_and_b32 vcc_lo, exec_lo, s2
	s_cbranch_vccnz .LBB22_25
; %bb.7:
	s_load_b32 s1, s[0:1], 0xc5c
	v_dual_mov_b32 v11, 0 :: v_dual_lshlrev_b32 v10, 1, v0
	v_cmp_gt_u64_e64 s2, 0x10000, s[8:9]
	v_cmp_lt_f32_e64 s0, |s5|, 0.5
	v_sub_f32_e64 v1, 1.0, s5
	s_delay_alu instid0(VALU_DEP_4) | instskip(NEXT) | instid1(VALU_DEP_1)
	v_add_co_u32 v2, s3, s12, v10
	v_add_co_ci_u32_e64 v3, null, s13, 0, s3
	v_add_co_u32 v4, s3, s14, v10
	s_delay_alu instid0(VALU_DEP_1)
	v_add_co_ci_u32_e64 v5, null, s15, 0, s3
	s_waitcnt lgkmcnt(0)
	s_and_b32 s1, s1, 0xffff
	s_and_b32 s2, s2, exec_lo
	v_mad_u64_u32 v[8:9], null, s1, 6, v[10:11]
	s_cselect_b32 s11, s9, 0
	s_cselect_b32 s10, s8, 0x10000
	s_mul_i32 s3, s1, 3
	s_lshl_b32 s16, s1, 2
	s_lshl_b32 s2, s1, 1
	v_add_co_u32 v15, s4, s16, v10
	v_add_co_u32 v10, s3, s3, v0
	s_delay_alu instid0(VALU_DEP_1) | instskip(SKIP_3) | instid1(VALU_DEP_3)
	v_add_co_ci_u32_e64 v11, null, 0, 0, s3
	v_add_co_u32 v14, s3, v0, s1
	v_add_co_u32 v6, vcc_lo, s12, v8
	v_add_co_ci_u32_e32 v7, vcc_lo, s13, v9, vcc_lo
	v_lshlrev_b32_e32 v22, 1, v14
	v_add_co_u32 v8, vcc_lo, s14, v8
	v_add_co_ci_u32_e64 v16, null, 0, 0, s4
	v_add_co_ci_u32_e32 v9, vcc_lo, s15, v9, vcc_lo
	v_add_co_u32 v18, s2, s2, v0
	v_add_co_u32 v12, vcc_lo, s12, v15
	v_add_co_ci_u32_e64 v19, null, 0, 0, s2
	v_add_co_u32 v20, s2, s12, v22
	v_add_co_ci_u32_e32 v13, vcc_lo, s13, v16, vcc_lo
	v_add_co_u32 v15, vcc_lo, s14, v15
	v_add_co_ci_u32_e64 v21, null, s13, 0, s2
	v_add_co_u32 v22, s2, s14, v22
	v_add_co_ci_u32_e32 v16, vcc_lo, s15, v16, vcc_lo
	v_add_co_ci_u32_e64 v17, null, 0, 0, s3
	v_add_co_ci_u32_e64 v23, null, s15, 0, s2
	s_lshl_b32 s14, s1, 3
	s_mov_b64 s[12:13], 0
	s_branch .LBB22_9
.LBB22_8:                               ;   in Loop: Header=BB22_9 Depth=1
	s_or_b32 exec_lo, exec_lo, s1
	v_add_co_u32 v2, vcc_lo, v2, s14
	v_add_co_ci_u32_e32 v3, vcc_lo, 0, v3, vcc_lo
	v_add_co_u32 v4, vcc_lo, v4, s14
	v_add_co_ci_u32_e32 v5, vcc_lo, 0, v5, vcc_lo
	;; [unrolled: 2-line block ×5, first 2 shown]
	s_add_u32 s12, s12, s16
	v_add_co_u32 v15, vcc_lo, v15, s14
	s_addc_u32 s13, s13, 0
	v_add_co_ci_u32_e32 v16, vcc_lo, 0, v16, vcc_lo
	v_cmp_ge_i64_e64 s1, s[12:13], s[8:9]
	v_cmp_lt_u64_e64 s2, 0xffff, s[12:13]
	v_add_co_u32 v20, vcc_lo, v20, s14
	v_add_co_ci_u32_e32 v21, vcc_lo, 0, v21, vcc_lo
	v_add_co_u32 v22, vcc_lo, v22, s14
	v_add_co_ci_u32_e32 v23, vcc_lo, 0, v23, vcc_lo
	s_or_b32 s1, s1, s2
	s_delay_alu instid0(SALU_CYCLE_1)
	s_and_b32 vcc_lo, exec_lo, s1
	s_cbranch_vccnz .LBB22_25
.LBB22_9:                               ; =>This Inner Loop Header: Depth=1
	s_waitcnt vmcnt(1)
	v_add_co_u32 v24, s1, v0, s12
	s_delay_alu instid0(VALU_DEP_1) | instskip(SKIP_2) | instid1(VALU_DEP_2)
	v_add_co_ci_u32_e64 v25, null, 0, s13, s1
	s_waitcnt vmcnt(0)
	v_mov_b32_e32 v26, 0
	v_cmp_gt_u64_e32 vcc_lo, s[10:11], v[24:25]
	v_mov_b32_e32 v25, 0
	s_and_saveexec_b32 s2, vcc_lo
	s_cbranch_execz .LBB22_11
; %bb.10:                               ;   in Loop: Header=BB22_9 Depth=1
	v_add_co_u32 v24, s1, v2, s6
	s_delay_alu instid0(VALU_DEP_1) | instskip(SKIP_1) | instid1(VALU_DEP_1)
	v_add_co_ci_u32_e64 v25, s1, s7, v3, s1
	v_add_co_u32 v26, s1, v4, s6
	v_add_co_ci_u32_e64 v27, s1, s7, v5, s1
	global_load_u16 v25, v[24:25], off
	global_load_u16 v26, v[26:27], off
.LBB22_11:                              ;   in Loop: Header=BB22_9 Depth=1
	s_or_b32 exec_lo, exec_lo, s2
	v_add_co_u32 v27, s1, v14, s12
	s_delay_alu instid0(VALU_DEP_1) | instskip(SKIP_1) | instid1(VALU_DEP_2)
	v_add_co_ci_u32_e64 v28, s1, s13, v17, s1
	v_mov_b32_e32 v24, 0
	v_cmp_gt_u64_e64 s1, s[10:11], v[27:28]
	v_dual_mov_b32 v27, 0 :: v_dual_mov_b32 v28, 0
	s_delay_alu instid0(VALU_DEP_2)
	s_and_saveexec_b32 s3, s1
	s_cbranch_execz .LBB22_13
; %bb.12:                               ;   in Loop: Header=BB22_9 Depth=1
	v_add_co_u32 v27, s2, v20, s6
	s_delay_alu instid0(VALU_DEP_1) | instskip(SKIP_1) | instid1(VALU_DEP_1)
	v_add_co_ci_u32_e64 v28, s2, s7, v21, s2
	v_add_co_u32 v29, s2, v22, s6
	v_add_co_ci_u32_e64 v30, s2, s7, v23, s2
	global_load_u16 v27, v[27:28], off
	global_load_u16 v28, v[29:30], off
.LBB22_13:                              ;   in Loop: Header=BB22_9 Depth=1
	s_or_b32 exec_lo, exec_lo, s3
	v_add_co_u32 v29, s2, v18, s12
	s_delay_alu instid0(VALU_DEP_1) | instskip(NEXT) | instid1(VALU_DEP_1)
	v_add_co_ci_u32_e64 v30, s2, s13, v19, s2
	v_cmp_gt_u64_e64 s2, s[10:11], v[29:30]
	v_mov_b32_e32 v29, 0
	s_delay_alu instid0(VALU_DEP_2)
	s_and_saveexec_b32 s4, s2
	s_cbranch_execz .LBB22_15
; %bb.14:                               ;   in Loop: Header=BB22_9 Depth=1
	v_add_co_u32 v29, s3, v12, s6
	s_delay_alu instid0(VALU_DEP_1) | instskip(SKIP_1) | instid1(VALU_DEP_1)
	v_add_co_ci_u32_e64 v30, s3, s7, v13, s3
	v_add_co_u32 v31, s3, v15, s6
	v_add_co_ci_u32_e64 v32, s3, s7, v16, s3
	global_load_u16 v24, v[29:30], off
	global_load_u16 v29, v[31:32], off
.LBB22_15:                              ;   in Loop: Header=BB22_9 Depth=1
	s_or_b32 exec_lo, exec_lo, s4
	v_add_co_u32 v30, s3, v10, s12
	s_delay_alu instid0(VALU_DEP_1) | instskip(NEXT) | instid1(VALU_DEP_1)
	v_add_co_ci_u32_e64 v31, s3, s13, v11, s3
	v_cmp_gt_u64_e64 s3, s[10:11], v[30:31]
	v_dual_mov_b32 v30, 0 :: v_dual_mov_b32 v31, 0
	s_delay_alu instid0(VALU_DEP_2)
	s_and_saveexec_b32 s15, s3
	s_cbranch_execnz .LBB22_20
; %bb.16:                               ;   in Loop: Header=BB22_9 Depth=1
	s_or_b32 exec_lo, exec_lo, s15
	s_and_saveexec_b32 s4, vcc_lo
	s_cbranch_execnz .LBB22_21
.LBB22_17:                              ;   in Loop: Header=BB22_9 Depth=1
	s_or_b32 exec_lo, exec_lo, s4
	s_and_saveexec_b32 s4, s1
	s_cbranch_execnz .LBB22_22
.LBB22_18:                              ;   in Loop: Header=BB22_9 Depth=1
	s_or_b32 exec_lo, exec_lo, s4
	s_and_saveexec_b32 s1, s2
	s_cbranch_execnz .LBB22_23
.LBB22_19:                              ;   in Loop: Header=BB22_9 Depth=1
	s_or_b32 exec_lo, exec_lo, s1
	s_and_saveexec_b32 s1, s3
	s_cbranch_execz .LBB22_8
	s_branch .LBB22_24
.LBB22_20:                              ;   in Loop: Header=BB22_9 Depth=1
	v_add_co_u32 v30, s4, v6, s6
	s_delay_alu instid0(VALU_DEP_1) | instskip(SKIP_1) | instid1(VALU_DEP_1)
	v_add_co_ci_u32_e64 v31, s4, s7, v7, s4
	v_add_co_u32 v32, s4, v8, s6
	v_add_co_ci_u32_e64 v33, s4, s7, v9, s4
	global_load_u16 v30, v[30:31], off
	global_load_u16 v31, v[32:33], off
	s_or_b32 exec_lo, exec_lo, s15
	s_and_saveexec_b32 s4, vcc_lo
	s_cbranch_execz .LBB22_17
.LBB22_21:                              ;   in Loop: Header=BB22_9 Depth=1
	s_waitcnt vmcnt(0)
	v_cvt_f32_f16_e32 v32, v26
	v_cvt_f32_f16_e32 v33, v25
	s_delay_alu instid0(VALU_DEP_1) | instskip(NEXT) | instid1(VALU_DEP_1)
	v_sub_f32_e32 v32, v32, v33
	v_fma_mix_f32 v25, v32, s5, v25 op_sel_hi:[0,0,1]
	v_fma_mix_f32 v26, -v1, v32, v26 op_sel_hi:[0,0,1]
	s_delay_alu instid0(VALU_DEP_1) | instskip(NEXT) | instid1(VALU_DEP_1)
	v_cndmask_b32_e64 v25, v26, v25, s0
	v_cvt_f16_f32_e32 v32, v25
	v_add_co_u32 v25, vcc_lo, v2, s6
	v_add_co_ci_u32_e32 v26, vcc_lo, s7, v3, vcc_lo
	global_store_b16 v[25:26], v32, off
	s_or_b32 exec_lo, exec_lo, s4
	s_and_saveexec_b32 s4, s1
	s_cbranch_execz .LBB22_18
.LBB22_22:                              ;   in Loop: Header=BB22_9 Depth=1
	s_waitcnt vmcnt(1)
	v_cvt_f32_f16_e32 v25, v27
	s_waitcnt vmcnt(0)
	v_cvt_f32_f16_e32 v26, v28
	s_delay_alu instid0(VALU_DEP_1) | instskip(NEXT) | instid1(VALU_DEP_1)
	v_sub_f32_e32 v25, v26, v25
	v_fma_mix_f32 v26, v25, s5, v27 op_sel_hi:[0,0,1]
	v_fma_mix_f32 v25, -v1, v25, v28 op_sel_hi:[0,0,1]
	s_delay_alu instid0(VALU_DEP_1) | instskip(NEXT) | instid1(VALU_DEP_1)
	v_cndmask_b32_e64 v25, v25, v26, s0
	v_cvt_f16_f32_e32 v27, v25
	v_add_co_u32 v25, vcc_lo, v20, s6
	v_add_co_ci_u32_e32 v26, vcc_lo, s7, v21, vcc_lo
	global_store_b16 v[25:26], v27, off
	s_or_b32 exec_lo, exec_lo, s4
	s_and_saveexec_b32 s1, s2
	s_cbranch_execz .LBB22_19
.LBB22_23:                              ;   in Loop: Header=BB22_9 Depth=1
	s_waitcnt vmcnt(1)
	v_cvt_f32_f16_e32 v25, v24
	s_waitcnt vmcnt(0)
	v_cvt_f32_f16_e32 v26, v29
	s_delay_alu instid0(VALU_DEP_1) | instskip(NEXT) | instid1(VALU_DEP_1)
	v_sub_f32_e32 v25, v26, v25
	v_fma_mix_f32 v24, v25, s5, v24 op_sel_hi:[0,0,1]
	v_fma_mix_f32 v25, -v1, v25, v29 op_sel_hi:[0,0,1]
	s_delay_alu instid0(VALU_DEP_1) | instskip(NEXT) | instid1(VALU_DEP_1)
	v_cndmask_b32_e64 v24, v25, v24, s0
	v_cvt_f16_f32_e32 v26, v24
	v_add_co_u32 v24, vcc_lo, v12, s6
	v_add_co_ci_u32_e32 v25, vcc_lo, s7, v13, vcc_lo
	global_store_b16 v[24:25], v26, off
	s_or_b32 exec_lo, exec_lo, s1
	s_and_saveexec_b32 s1, s3
	s_cbranch_execz .LBB22_8
.LBB22_24:                              ;   in Loop: Header=BB22_9 Depth=1
	s_waitcnt vmcnt(1)
	v_cvt_f32_f16_e32 v24, v30
	s_waitcnt vmcnt(0)
	v_cvt_f32_f16_e32 v25, v31
	s_delay_alu instid0(VALU_DEP_1) | instskip(NEXT) | instid1(VALU_DEP_1)
	v_sub_f32_e32 v24, v25, v24
	v_fma_mix_f32 v25, v24, s5, v30 op_sel_hi:[0,0,1]
	v_fma_mix_f32 v24, -v1, v24, v31 op_sel_hi:[0,0,1]
	s_delay_alu instid0(VALU_DEP_1) | instskip(NEXT) | instid1(VALU_DEP_1)
	v_cndmask_b32_e64 v24, v24, v25, s0
	v_cvt_f16_f32_e32 v26, v24
	v_add_co_u32 v24, vcc_lo, v6, s6
	v_add_co_ci_u32_e32 v25, vcc_lo, s7, v7, vcc_lo
	global_store_b16 v[24:25], v26, off
	s_branch .LBB22_8
.LBB22_25:
	s_nop 0
	s_sendmsg sendmsg(MSG_DEALLOC_VGPRS)
	s_endpgm
	.section	.rodata,"a",@progbits
	.p2align	6, 0x0
	.amdhsa_kernel _ZN2at6native12_GLOBAL__N_125multi_tensor_apply_kernelINS1_18TensorListMetadataILi2EEENS1_22TernaryOpScalarFunctorIN3c104HalfELi2ELi2ELi0EEEJNS0_11LerpFunctorIfEEfEEEvT_T0_DpT1_
		.amdhsa_group_segment_fixed_size 0
		.amdhsa_private_segment_fixed_size 0
		.amdhsa_kernarg_size 3408
		.amdhsa_user_sgpr_count 15
		.amdhsa_user_sgpr_dispatch_ptr 0
		.amdhsa_user_sgpr_queue_ptr 0
		.amdhsa_user_sgpr_kernarg_segment_ptr 1
		.amdhsa_user_sgpr_dispatch_id 0
		.amdhsa_user_sgpr_private_segment_size 0
		.amdhsa_wavefront_size32 1
		.amdhsa_uses_dynamic_stack 0
		.amdhsa_enable_private_segment 0
		.amdhsa_system_sgpr_workgroup_id_x 1
		.amdhsa_system_sgpr_workgroup_id_y 0
		.amdhsa_system_sgpr_workgroup_id_z 0
		.amdhsa_system_sgpr_workgroup_info 0
		.amdhsa_system_vgpr_workitem_id 0
		.amdhsa_next_free_vgpr 34
		.amdhsa_next_free_sgpr 24
		.amdhsa_reserve_vcc 1
		.amdhsa_float_round_mode_32 0
		.amdhsa_float_round_mode_16_64 0
		.amdhsa_float_denorm_mode_32 3
		.amdhsa_float_denorm_mode_16_64 3
		.amdhsa_dx10_clamp 1
		.amdhsa_ieee_mode 1
		.amdhsa_fp16_overflow 0
		.amdhsa_workgroup_processor_mode 1
		.amdhsa_memory_ordered 1
		.amdhsa_forward_progress 0
		.amdhsa_shared_vgpr_count 0
		.amdhsa_exception_fp_ieee_invalid_op 0
		.amdhsa_exception_fp_denorm_src 0
		.amdhsa_exception_fp_ieee_div_zero 0
		.amdhsa_exception_fp_ieee_overflow 0
		.amdhsa_exception_fp_ieee_underflow 0
		.amdhsa_exception_fp_ieee_inexact 0
		.amdhsa_exception_int_div_zero 0
	.end_amdhsa_kernel
	.section	.text._ZN2at6native12_GLOBAL__N_125multi_tensor_apply_kernelINS1_18TensorListMetadataILi2EEENS1_22TernaryOpScalarFunctorIN3c104HalfELi2ELi2ELi0EEEJNS0_11LerpFunctorIfEEfEEEvT_T0_DpT1_,"axG",@progbits,_ZN2at6native12_GLOBAL__N_125multi_tensor_apply_kernelINS1_18TensorListMetadataILi2EEENS1_22TernaryOpScalarFunctorIN3c104HalfELi2ELi2ELi0EEEJNS0_11LerpFunctorIfEEfEEEvT_T0_DpT1_,comdat
.Lfunc_end22:
	.size	_ZN2at6native12_GLOBAL__N_125multi_tensor_apply_kernelINS1_18TensorListMetadataILi2EEENS1_22TernaryOpScalarFunctorIN3c104HalfELi2ELi2ELi0EEEJNS0_11LerpFunctorIfEEfEEEvT_T0_DpT1_, .Lfunc_end22-_ZN2at6native12_GLOBAL__N_125multi_tensor_apply_kernelINS1_18TensorListMetadataILi2EEENS1_22TernaryOpScalarFunctorIN3c104HalfELi2ELi2ELi0EEEJNS0_11LerpFunctorIfEEfEEEvT_T0_DpT1_
                                        ; -- End function
	.section	.AMDGPU.csdata,"",@progbits
; Kernel info:
; codeLenInByte = 1928
; NumSgprs: 26
; NumVgprs: 34
; ScratchSize: 0
; MemoryBound: 0
; FloatMode: 240
; IeeeMode: 1
; LDSByteSize: 0 bytes/workgroup (compile time only)
; SGPRBlocks: 3
; VGPRBlocks: 4
; NumSGPRsForWavesPerEU: 26
; NumVGPRsForWavesPerEU: 34
; Occupancy: 16
; WaveLimiterHint : 0
; COMPUTE_PGM_RSRC2:SCRATCH_EN: 0
; COMPUTE_PGM_RSRC2:USER_SGPR: 15
; COMPUTE_PGM_RSRC2:TRAP_HANDLER: 0
; COMPUTE_PGM_RSRC2:TGID_X_EN: 1
; COMPUTE_PGM_RSRC2:TGID_Y_EN: 0
; COMPUTE_PGM_RSRC2:TGID_Z_EN: 0
; COMPUTE_PGM_RSRC2:TIDIG_COMP_CNT: 0
	.section	.text._ZN2at6native12_GLOBAL__N_125multi_tensor_apply_kernelINS1_18TensorListMetadataILi2EEENS1_22TernaryOpScalarFunctorIN3c108BFloat16ELi2ELi2ELi0EEEJNS0_11LerpFunctorIfEEfEEEvT_T0_DpT1_,"axG",@progbits,_ZN2at6native12_GLOBAL__N_125multi_tensor_apply_kernelINS1_18TensorListMetadataILi2EEENS1_22TernaryOpScalarFunctorIN3c108BFloat16ELi2ELi2ELi0EEEJNS0_11LerpFunctorIfEEfEEEvT_T0_DpT1_,comdat
	.globl	_ZN2at6native12_GLOBAL__N_125multi_tensor_apply_kernelINS1_18TensorListMetadataILi2EEENS1_22TernaryOpScalarFunctorIN3c108BFloat16ELi2ELi2ELi0EEEJNS0_11LerpFunctorIfEEfEEEvT_T0_DpT1_ ; -- Begin function _ZN2at6native12_GLOBAL__N_125multi_tensor_apply_kernelINS1_18TensorListMetadataILi2EEENS1_22TernaryOpScalarFunctorIN3c108BFloat16ELi2ELi2ELi0EEEJNS0_11LerpFunctorIfEEfEEEvT_T0_DpT1_
	.p2align	8
	.type	_ZN2at6native12_GLOBAL__N_125multi_tensor_apply_kernelINS1_18TensorListMetadataILi2EEENS1_22TernaryOpScalarFunctorIN3c108BFloat16ELi2ELi2ELi0EEEJNS0_11LerpFunctorIfEEfEEEvT_T0_DpT1_,@function
_ZN2at6native12_GLOBAL__N_125multi_tensor_apply_kernelINS1_18TensorListMetadataILi2EEENS1_22TernaryOpScalarFunctorIN3c108BFloat16ELi2ELi2ELi0EEEJNS0_11LerpFunctorIfEEfEEEvT_T0_DpT1_: ; @_ZN2at6native12_GLOBAL__N_125multi_tensor_apply_kernelINS1_18TensorListMetadataILi2EEENS1_22TernaryOpScalarFunctorIN3c108BFloat16ELi2ELi2ELi0EEEJNS0_11LerpFunctorIfEEfEEEvT_T0_DpT1_
; %bb.0:
	v_mov_b32_e32 v1, s15
	s_add_u32 s2, s0, s15
	s_mul_hi_u32 s3, s15, 3
	s_mul_i32 s15, s15, 3
	s_addc_u32 s4, s1, 0
	global_load_u8 v1, v1, s[0:1] offset:1536
	s_add_u32 s2, s2, s15
	s_addc_u32 s3, s4, s3
	s_mov_b32 s7, 0
	s_load_b32 s2, s[2:3], 0x740
	s_mov_b32 s19, s7
	s_mov_b32 s11, s7
	s_waitcnt vmcnt(0)
	v_readfirstlane_b32 s3, v1
	s_delay_alu instid0(VALU_DEP_1)
	s_lshl_b32 s3, s3, 3
	s_clause 0x3
	s_load_b64 s[12:13], s[0:1], s3 offset:0x0
	s_load_b64 s[14:15], s[0:1], s3 offset:0x200
	;; [unrolled: 1-line block ×3, first 2 shown]
	s_load_b32 s16, s[0:1], 0xc4c
	s_waitcnt lgkmcnt(0)
	s_ashr_i32 s3, s2, 31
	s_delay_alu instid0(SALU_CYCLE_1) | instskip(SKIP_4) | instid1(SALU_CYCLE_1)
	s_lshl_b64 s[8:9], s[2:3], 17
	s_lshl_b64 s[2:3], s[2:3], 16
	s_and_b32 s6, s12, 7
	s_and_b32 s10, s14, 7
	;; [unrolled: 1-line block ×3, first 2 shown]
	s_or_b64 s[6:7], s[6:7], s[18:19]
	s_delay_alu instid0(SALU_CYCLE_1)
	s_or_b64 s[6:7], s[10:11], s[6:7]
	s_sub_u32 s10, s4, s2
	s_subb_u32 s11, s5, s3
	s_cmp_eq_u64 s[6:7], 0
	s_mov_b32 s2, -1
	s_cbranch_scc0 .LBB23_5
; %bb.1:
	v_dual_mov_b32 v2, 0 :: v_dual_lshlrev_b32 v1, 2, v0
	s_mov_b32 s7, exec_lo
	s_delay_alu instid0(VALU_DEP_1)
	v_cmpx_gt_i64_e64 s[10:11], v[1:2]
	s_cbranch_execz .LBB23_4
; %bb.2:
	s_load_b32 s2, s[0:1], 0xc5c
	v_lshlrev_b32_e32 v1, 3, v0
	v_cmp_lt_f32_e64 vcc_lo, |s16|, 0.5
	v_sub_f32_e64 v3, 1.0, s16
	s_mov_b32 s17, 0
	s_delay_alu instid0(VALU_DEP_3) | instskip(NEXT) | instid1(VALU_DEP_1)
	v_add_co_u32 v4, s3, s8, v1
	v_add_co_ci_u32_e64 v5, null, s9, 0, s3
	s_waitcnt lgkmcnt(0)
	s_and_b32 s2, s2, 0xffff
	s_delay_alu instid0(SALU_CYCLE_1)
	v_add_lshl_u32 v1, v0, s2, 2
	s_lshl_b32 s18, s2, 3
	s_lshl_b32 s19, s2, 2
.LBB23_3:                               ; =>This Inner Loop Header: Depth=1
	v_add_co_u32 v6, s2, s12, v4
	s_delay_alu instid0(VALU_DEP_1) | instskip(SKIP_1) | instid1(VALU_DEP_1)
	v_add_co_ci_u32_e64 v7, s2, s13, v5, s2
	v_add_co_u32 v8, s2, s14, v4
	v_add_co_ci_u32_e64 v9, s2, s15, v5, s2
	v_cmp_le_i64_e64 s2, s[10:11], v[1:2]
	global_load_b64 v[10:11], v[6:7], off
	global_load_b64 v[8:9], v[8:9], off
	v_cmp_lt_u64_e64 s3, 0xffff, v[1:2]
	v_add_co_u32 v4, s4, v4, s18
	s_delay_alu instid0(VALU_DEP_1) | instskip(SKIP_1) | instid1(VALU_DEP_4)
	v_add_co_ci_u32_e64 v5, s4, 0, v5, s4
	v_add_co_u32 v1, s4, v1, s19
	s_or_b32 s2, s2, s3
	v_add_co_ci_u32_e64 v2, s4, 0, v2, s4
	s_and_b32 s2, exec_lo, s2
	s_delay_alu instid0(SALU_CYCLE_1)
	s_or_b32 s17, s2, s17
	s_waitcnt vmcnt(1)
	v_lshlrev_b32_e32 v12, 16, v10
	v_and_b32_e32 v14, 0xffff0000, v10
	s_waitcnt vmcnt(0)
	v_and_b32_e32 v15, 0xffff0000, v8
	v_alignbit_b32 v10, v11, v10, 16
	v_and_b32_e32 v11, 0xffff0000, v11
	v_lshlrev_b32_e32 v13, 16, v8
	v_alignbit_b32 v8, v9, v8, 16
	v_and_b32_e32 v9, 0xffff0000, v9
	v_sub_f32_e32 v17, v15, v14
	v_and_b32_e32 v10, 0xffff0000, v10
	s_delay_alu instid0(VALU_DEP_4) | instskip(NEXT) | instid1(VALU_DEP_4)
	v_and_b32_e32 v8, 0xffff0000, v8
	v_sub_f32_e32 v18, v9, v11
	s_delay_alu instid0(VALU_DEP_4) | instskip(SKIP_1) | instid1(VALU_DEP_3)
	v_fmac_f32_e32 v14, s16, v17
	v_fma_f32 v15, -v3, v17, v15
	v_fmac_f32_e32 v11, s16, v18
	v_fma_f32 v9, -v3, v18, v9
	s_delay_alu instid0(VALU_DEP_1) | instskip(SKIP_1) | instid1(VALU_DEP_1)
	v_cndmask_b32_e32 v9, v9, v11, vcc_lo
	v_sub_f32_e32 v16, v13, v12
	v_fmac_f32_e32 v12, s16, v16
	v_fma_f32 v13, -v3, v16, v13
	v_sub_f32_e32 v16, v8, v10
	s_delay_alu instid0(VALU_DEP_2) | instskip(NEXT) | instid1(VALU_DEP_2)
	v_dual_cndmask_b32 v12, v13, v12 :: v_dual_cndmask_b32 v13, v15, v14
	v_fmac_f32_e32 v10, s16, v16
	v_fma_f32 v8, -v3, v16, v8
	s_delay_alu instid0(VALU_DEP_3) | instskip(NEXT) | instid1(VALU_DEP_4)
	v_bfe_u32 v11, v12, 16, 1
	v_bfe_u32 v14, v13, 16, 1
	v_cmp_o_f32_e64 s5, v13, v13
	s_delay_alu instid0(VALU_DEP_4)
	v_cndmask_b32_e32 v8, v8, v10, vcc_lo
	v_bfe_u32 v10, v9, 16, 1
	v_add3_u32 v11, v12, v11, 0x7fff
	v_add3_u32 v14, v13, v14, 0x7fff
	v_cmp_o_f32_e64 s6, v12, v12
	v_bfe_u32 v15, v8, 16, 1
	v_add3_u32 v10, v9, v10, 0x7fff
	v_lshrrev_b32_e32 v11, 16, v11
	v_and_b32_e32 v14, 0xffff0000, v14
	s_delay_alu instid0(VALU_DEP_4) | instskip(NEXT) | instid1(VALU_DEP_4)
	v_add3_u32 v15, v8, v15, 0x7fff
	v_and_b32_e32 v10, 0xffff0000, v10
	s_delay_alu instid0(VALU_DEP_4) | instskip(NEXT) | instid1(VALU_DEP_4)
	v_cndmask_b32_e64 v11, 0x7fc0, v11, s6
	v_cndmask_b32_e64 v13, 0x7fc00000, v14, s5
	v_cmp_o_f32_e64 s5, v9, v9
	v_lshrrev_b32_e32 v12, 16, v15
	s_delay_alu instid0(VALU_DEP_2) | instskip(SKIP_2) | instid1(VALU_DEP_2)
	v_cndmask_b32_e64 v9, 0x7fc00000, v10, s5
	v_cmp_o_f32_e64 s5, v8, v8
	v_or_b32_e32 v10, v11, v13
	v_cndmask_b32_e64 v8, 0x7fc0, v12, s5
	s_delay_alu instid0(VALU_DEP_1) | instskip(NEXT) | instid1(VALU_DEP_3)
	v_or3_b32 v9, 0, v8, v9
	v_or3_b32 v8, v10, 0, 0
	global_store_b64 v[6:7], v[8:9], off
	s_and_not1_b32 exec_lo, exec_lo, s17
	s_cbranch_execnz .LBB23_3
.LBB23_4:
	s_or_b32 exec_lo, exec_lo, s7
	s_mov_b32 s2, 0
.LBB23_5:
	s_delay_alu instid0(SALU_CYCLE_1)
	s_and_not1_b32 vcc_lo, exec_lo, s2
	s_cbranch_vccnz .LBB23_25
; %bb.6:
	v_cmp_lt_i64_e64 s2, s[10:11], 1
	s_delay_alu instid0(VALU_DEP_1)
	s_and_b32 vcc_lo, exec_lo, s2
	s_cbranch_vccnz .LBB23_25
; %bb.7:
	s_load_b32 s1, s[0:1], 0xc5c
	v_dual_mov_b32 v2, 0 :: v_dual_lshlrev_b32 v1, 1, v0
	v_cmp_gt_u64_e64 s2, 0x10000, s[10:11]
	v_cmp_lt_f32_e64 s0, |s16|, 0.5
	v_sub_f32_e64 v3, 1.0, s16
	s_delay_alu instid0(VALU_DEP_4) | instskip(NEXT) | instid1(VALU_DEP_1)
	v_add_co_u32 v4, s3, s12, v1
	v_add_co_ci_u32_e64 v5, null, s13, 0, s3
	v_add_co_u32 v6, s3, s14, v1
	s_delay_alu instid0(VALU_DEP_1)
	v_add_co_ci_u32_e64 v7, null, s15, 0, s3
	s_waitcnt lgkmcnt(0)
	s_and_b32 s1, s1, 0xffff
	s_and_b32 s2, s2, exec_lo
	v_mad_u64_u32 v[10:11], null, s1, 6, v[1:2]
	s_cselect_b32 s7, s11, 0
	s_cselect_b32 s6, s10, 0x10000
	s_lshl_b32 s5, s1, 2
	s_mul_i32 s3, s1, 3
	v_add_co_u32 v1, s4, s5, v1
	s_delay_alu instid0(VALU_DEP_2) | instskip(NEXT) | instid1(VALU_DEP_3)
	v_add_co_u32 v8, vcc_lo, s12, v10
	v_add_co_ci_u32_e32 v9, vcc_lo, s13, v11, vcc_lo
	v_add_co_u32 v12, s3, s3, v0
	v_add_co_u32 v10, vcc_lo, s14, v10
	v_add_co_ci_u32_e64 v2, null, 0, 0, s4
	v_add_co_ci_u32_e64 v13, null, 0, 0, s3
	v_add_co_u32 v16, s3, v0, s1
	v_add_co_ci_u32_e32 v11, vcc_lo, s15, v11, vcc_lo
	v_add_co_u32 v14, vcc_lo, s12, v1
	v_add_co_ci_u32_e32 v15, vcc_lo, s13, v2, vcc_lo
	v_add_co_u32 v17, vcc_lo, s14, v1
	v_lshlrev_b32_e32 v1, 1, v16
	s_lshl_b32 s2, s1, 1
	v_add_co_ci_u32_e32 v18, vcc_lo, s15, v2, vcc_lo
	v_add_co_u32 v20, s2, s2, v0
	s_delay_alu instid0(VALU_DEP_1) | instskip(SKIP_1) | instid1(VALU_DEP_1)
	v_add_co_ci_u32_e64 v21, null, 0, 0, s2
	v_add_co_u32 v22, s2, s12, v1
	v_add_co_ci_u32_e64 v23, null, s13, 0, s2
	v_add_co_u32 v24, s2, s14, v1
	v_add_co_ci_u32_e64 v19, null, 0, 0, s3
	v_add_co_ci_u32_e64 v25, null, s15, 0, s2
	s_mov_b32 s14, 0
	s_lshl_b32 s15, s1, 3
	s_mov_b64 s[12:13], 0
	s_branch .LBB23_9
.LBB23_8:                               ;   in Loop: Header=BB23_9 Depth=1
	s_or_b32 exec_lo, exec_lo, s1
	v_add_co_u32 v4, vcc_lo, v4, s15
	v_add_co_ci_u32_e32 v5, vcc_lo, 0, v5, vcc_lo
	v_add_co_u32 v6, vcc_lo, v6, s15
	v_add_co_ci_u32_e32 v7, vcc_lo, 0, v7, vcc_lo
	;; [unrolled: 2-line block ×5, first 2 shown]
	s_add_u32 s12, s12, s5
	v_add_co_u32 v17, vcc_lo, v17, s15
	s_addc_u32 s13, s13, 0
	v_add_co_ci_u32_e32 v18, vcc_lo, 0, v18, vcc_lo
	v_cmp_ge_i64_e64 s1, s[12:13], s[10:11]
	v_cmp_lt_u64_e64 s2, 0xffff, s[12:13]
	v_add_co_u32 v22, vcc_lo, v22, s15
	v_add_co_ci_u32_e32 v23, vcc_lo, 0, v23, vcc_lo
	v_add_co_u32 v24, vcc_lo, v24, s15
	v_add_co_ci_u32_e32 v25, vcc_lo, 0, v25, vcc_lo
	s_or_b32 s1, s1, s2
	s_delay_alu instid0(SALU_CYCLE_1)
	s_and_b32 vcc_lo, exec_lo, s1
	s_cbranch_vccnz .LBB23_25
.LBB23_9:                               ; =>This Inner Loop Header: Depth=1
	v_add_co_u32 v1, s1, v0, s12
	s_delay_alu instid0(VALU_DEP_1) | instskip(SKIP_2) | instid1(VALU_DEP_2)
	v_add_co_ci_u32_e64 v2, null, 0, s13, s1
	s_waitcnt vmcnt(0)
	v_mov_b32_e32 v27, 0
	v_cmp_gt_u64_e32 vcc_lo, s[6:7], v[1:2]
	v_mov_b32_e32 v1, 0
	v_mov_b32_e32 v2, 0
	s_and_saveexec_b32 s2, vcc_lo
	s_cbranch_execz .LBB23_11
; %bb.10:                               ;   in Loop: Header=BB23_9 Depth=1
	v_add_co_u32 v1, s1, v4, s8
	s_delay_alu instid0(VALU_DEP_1) | instskip(SKIP_2) | instid1(VALU_DEP_1)
	v_add_co_ci_u32_e64 v2, s1, s9, v5, s1
	global_load_u16 v26, v[1:2], off
	v_add_co_u32 v1, s1, v6, s8
	v_add_co_ci_u32_e64 v2, s1, s9, v7, s1
	global_load_u16 v27, v[1:2], off
	s_waitcnt vmcnt(1)
	v_dual_mov_b32 v2, s14 :: v_dual_and_b32 v1, 0xffff, v26
.LBB23_11:                              ;   in Loop: Header=BB23_9 Depth=1
	s_or_b32 exec_lo, exec_lo, s2
	v_add_co_u32 v28, s1, v16, s12
	s_delay_alu instid0(VALU_DEP_1) | instskip(SKIP_1) | instid1(VALU_DEP_2)
	v_add_co_ci_u32_e64 v29, s1, s13, v19, s1
	v_mov_b32_e32 v26, 0
	v_cmp_gt_u64_e64 s1, s[6:7], v[28:29]
	v_mov_b32_e32 v28, 0
	s_delay_alu instid0(VALU_DEP_2)
	s_and_saveexec_b32 s3, s1
	s_cbranch_execz .LBB23_13
; %bb.12:                               ;   in Loop: Header=BB23_9 Depth=1
	v_add_co_u32 v28, s2, v22, s8
	s_delay_alu instid0(VALU_DEP_1) | instskip(SKIP_2) | instid1(VALU_DEP_1)
	v_add_co_ci_u32_e64 v29, s2, s9, v23, s2
	global_load_u16 v30, v[28:29], off
	v_add_co_u32 v28, s2, v24, s8
	v_add_co_ci_u32_e64 v29, s2, s9, v25, s2
	global_load_u16 v28, v[28:29], off
	s_waitcnt vmcnt(1)
	v_lshl_or_b32 v1, v30, 16, v1
.LBB23_13:                              ;   in Loop: Header=BB23_9 Depth=1
	s_or_b32 exec_lo, exec_lo, s3
	v_add_co_u32 v29, s2, v20, s12
	s_delay_alu instid0(VALU_DEP_1) | instskip(NEXT) | instid1(VALU_DEP_1)
	v_add_co_ci_u32_e64 v30, s2, s13, v21, s2
	v_cmp_gt_u64_e64 s2, s[6:7], v[29:30]
	s_delay_alu instid0(VALU_DEP_1)
	s_and_saveexec_b32 s4, s2
	s_cbranch_execz .LBB23_15
; %bb.14:                               ;   in Loop: Header=BB23_9 Depth=1
	v_add_co_u32 v29, s3, v14, s8
	s_delay_alu instid0(VALU_DEP_1) | instskip(SKIP_2) | instid1(VALU_DEP_1)
	v_add_co_ci_u32_e64 v30, s3, s9, v15, s3
	global_load_u16 v31, v[29:30], off
	v_add_co_u32 v29, s3, v17, s8
	v_add_co_ci_u32_e64 v30, s3, s9, v18, s3
	global_load_u16 v26, v[29:30], off
	s_waitcnt vmcnt(1)
	v_or_b32_e32 v2, v31, v2
.LBB23_15:                              ;   in Loop: Header=BB23_9 Depth=1
	s_or_b32 exec_lo, exec_lo, s4
	v_add_co_u32 v29, s3, v12, s12
	s_delay_alu instid0(VALU_DEP_1) | instskip(NEXT) | instid1(VALU_DEP_1)
	v_add_co_ci_u32_e64 v30, s3, s13, v13, s3
	v_cmp_gt_u64_e64 s3, s[6:7], v[29:30]
	v_mov_b32_e32 v29, 0
	s_delay_alu instid0(VALU_DEP_2)
	s_and_saveexec_b32 s17, s3
	s_cbranch_execnz .LBB23_20
; %bb.16:                               ;   in Loop: Header=BB23_9 Depth=1
	s_or_b32 exec_lo, exec_lo, s17
	s_and_saveexec_b32 s4, vcc_lo
	s_cbranch_execnz .LBB23_21
.LBB23_17:                              ;   in Loop: Header=BB23_9 Depth=1
	s_or_b32 exec_lo, exec_lo, s4
	s_and_saveexec_b32 s4, s1
	s_cbranch_execnz .LBB23_22
.LBB23_18:                              ;   in Loop: Header=BB23_9 Depth=1
	s_or_b32 exec_lo, exec_lo, s4
	s_and_saveexec_b32 s1, s2
	s_cbranch_execnz .LBB23_23
.LBB23_19:                              ;   in Loop: Header=BB23_9 Depth=1
	s_or_b32 exec_lo, exec_lo, s1
	s_and_saveexec_b32 s1, s3
	s_cbranch_execz .LBB23_8
	s_branch .LBB23_24
.LBB23_20:                              ;   in Loop: Header=BB23_9 Depth=1
	v_add_co_u32 v29, s4, v8, s8
	s_delay_alu instid0(VALU_DEP_1) | instskip(SKIP_3) | instid1(VALU_DEP_1)
	v_add_co_ci_u32_e64 v30, s4, s9, v9, s4
	v_mov_b32_e32 v31, 0
	global_load_d16_hi_b16 v31, v[29:30], off
	v_add_co_u32 v29, s4, v10, s8
	v_add_co_ci_u32_e64 v30, s4, s9, v11, s4
	global_load_u16 v29, v[29:30], off
	s_waitcnt vmcnt(1)
	v_or_b32_e32 v2, v31, v2
	s_or_b32 exec_lo, exec_lo, s17
	s_and_saveexec_b32 s4, vcc_lo
	s_cbranch_execz .LBB23_17
.LBB23_21:                              ;   in Loop: Header=BB23_9 Depth=1
	s_waitcnt vmcnt(0)
	v_lshlrev_b32_e32 v27, 16, v27
	v_lshlrev_b32_e32 v30, 16, v1
	s_delay_alu instid0(VALU_DEP_1) | instskip(NEXT) | instid1(VALU_DEP_1)
	v_sub_f32_e32 v31, v27, v30
	v_fmac_f32_e32 v30, s16, v31
	v_fma_f32 v27, -v3, v31, v27
	s_delay_alu instid0(VALU_DEP_1) | instskip(NEXT) | instid1(VALU_DEP_1)
	v_cndmask_b32_e64 v27, v27, v30, s0
	v_bfe_u32 v30, v27, 16, 1
	s_delay_alu instid0(VALU_DEP_1) | instskip(NEXT) | instid1(VALU_DEP_1)
	v_add3_u32 v30, v27, v30, 0x7fff
	v_lshrrev_b32_e32 v32, 16, v30
	v_add_co_u32 v30, vcc_lo, v4, s8
	v_add_co_ci_u32_e32 v31, vcc_lo, s9, v5, vcc_lo
	v_cmp_o_f32_e32 vcc_lo, v27, v27
	s_delay_alu instid0(VALU_DEP_4)
	v_cndmask_b32_e32 v27, 0x7fc0, v32, vcc_lo
	global_store_b16 v[30:31], v27, off
	s_or_b32 exec_lo, exec_lo, s4
	s_and_saveexec_b32 s4, s1
	s_cbranch_execz .LBB23_18
.LBB23_22:                              ;   in Loop: Header=BB23_9 Depth=1
	s_waitcnt vmcnt(0)
	v_and_b32_e32 v27, 0xffff0000, v1
	v_lshlrev_b32_e32 v28, 16, v28
	s_delay_alu instid0(VALU_DEP_1) | instskip(NEXT) | instid1(VALU_DEP_1)
	v_sub_f32_e32 v30, v28, v27
	v_fmac_f32_e32 v27, s16, v30
	v_fma_f32 v28, -v3, v30, v28
	s_delay_alu instid0(VALU_DEP_1) | instskip(NEXT) | instid1(VALU_DEP_1)
	v_cndmask_b32_e64 v27, v28, v27, s0
	v_bfe_u32 v28, v27, 16, 1
	v_cmp_o_f32_e32 vcc_lo, v27, v27
	s_delay_alu instid0(VALU_DEP_2) | instskip(NEXT) | instid1(VALU_DEP_1)
	v_add3_u32 v28, v27, v28, 0x7fff
	v_lshrrev_b32_e32 v28, 16, v28
	s_delay_alu instid0(VALU_DEP_1)
	v_cndmask_b32_e32 v30, 0x7fc0, v28, vcc_lo
	v_add_co_u32 v27, vcc_lo, v22, s8
	v_add_co_ci_u32_e32 v28, vcc_lo, s9, v23, vcc_lo
	global_store_b16 v[27:28], v30, off
	s_or_b32 exec_lo, exec_lo, s4
	s_and_saveexec_b32 s1, s2
	s_cbranch_execz .LBB23_19
.LBB23_23:                              ;   in Loop: Header=BB23_9 Depth=1
	v_alignbit_b32 v1, v2, v1, 16
	s_delay_alu instid0(VALU_DEP_1) | instskip(SKIP_2) | instid1(VALU_DEP_1)
	v_and_b32_e32 v1, 0xffff0000, v1
	s_waitcnt vmcnt(0)
	v_lshlrev_b32_e32 v26, 16, v26
	v_sub_f32_e32 v27, v26, v1
	s_delay_alu instid0(VALU_DEP_1) | instskip(SKIP_1) | instid1(VALU_DEP_1)
	v_fmac_f32_e32 v1, s16, v27
	v_fma_f32 v26, -v3, v27, v26
	v_cndmask_b32_e64 v1, v26, v1, s0
	s_delay_alu instid0(VALU_DEP_1) | instskip(SKIP_1) | instid1(VALU_DEP_2)
	v_bfe_u32 v26, v1, 16, 1
	v_cmp_o_f32_e32 vcc_lo, v1, v1
	v_add3_u32 v26, v1, v26, 0x7fff
	s_delay_alu instid0(VALU_DEP_1) | instskip(NEXT) | instid1(VALU_DEP_1)
	v_lshrrev_b32_e32 v26, 16, v26
	v_cndmask_b32_e32 v1, 0x7fc0, v26, vcc_lo
	v_add_co_u32 v26, vcc_lo, v14, s8
	v_add_co_ci_u32_e32 v27, vcc_lo, s9, v15, vcc_lo
	global_store_b16 v[26:27], v1, off
	s_or_b32 exec_lo, exec_lo, s1
	s_and_saveexec_b32 s1, s3
	s_cbranch_execz .LBB23_8
.LBB23_24:                              ;   in Loop: Header=BB23_9 Depth=1
	v_and_b32_e32 v1, 0xffff0000, v2
	s_waitcnt vmcnt(0)
	v_lshlrev_b32_e32 v2, 16, v29
	s_delay_alu instid0(VALU_DEP_1) | instskip(NEXT) | instid1(VALU_DEP_1)
	v_sub_f32_e32 v26, v2, v1
	v_fmac_f32_e32 v1, s16, v26
	v_fma_f32 v2, -v3, v26, v2
	s_delay_alu instid0(VALU_DEP_1) | instskip(NEXT) | instid1(VALU_DEP_1)
	v_cndmask_b32_e64 v1, v2, v1, s0
	v_bfe_u32 v2, v1, 16, 1
	v_cmp_o_f32_e32 vcc_lo, v1, v1
	s_delay_alu instid0(VALU_DEP_2) | instskip(NEXT) | instid1(VALU_DEP_1)
	v_add3_u32 v2, v1, v2, 0x7fff
	v_lshrrev_b32_e32 v2, 16, v2
	s_delay_alu instid0(VALU_DEP_1)
	v_cndmask_b32_e32 v26, 0x7fc0, v2, vcc_lo
	v_add_co_u32 v1, vcc_lo, v8, s8
	v_add_co_ci_u32_e32 v2, vcc_lo, s9, v9, vcc_lo
	global_store_b16 v[1:2], v26, off
	s_branch .LBB23_8
.LBB23_25:
	s_nop 0
	s_sendmsg sendmsg(MSG_DEALLOC_VGPRS)
	s_endpgm
	.section	.rodata,"a",@progbits
	.p2align	6, 0x0
	.amdhsa_kernel _ZN2at6native12_GLOBAL__N_125multi_tensor_apply_kernelINS1_18TensorListMetadataILi2EEENS1_22TernaryOpScalarFunctorIN3c108BFloat16ELi2ELi2ELi0EEEJNS0_11LerpFunctorIfEEfEEEvT_T0_DpT1_
		.amdhsa_group_segment_fixed_size 0
		.amdhsa_private_segment_fixed_size 0
		.amdhsa_kernarg_size 3408
		.amdhsa_user_sgpr_count 15
		.amdhsa_user_sgpr_dispatch_ptr 0
		.amdhsa_user_sgpr_queue_ptr 0
		.amdhsa_user_sgpr_kernarg_segment_ptr 1
		.amdhsa_user_sgpr_dispatch_id 0
		.amdhsa_user_sgpr_private_segment_size 0
		.amdhsa_wavefront_size32 1
		.amdhsa_uses_dynamic_stack 0
		.amdhsa_enable_private_segment 0
		.amdhsa_system_sgpr_workgroup_id_x 1
		.amdhsa_system_sgpr_workgroup_id_y 0
		.amdhsa_system_sgpr_workgroup_id_z 0
		.amdhsa_system_sgpr_workgroup_info 0
		.amdhsa_system_vgpr_workitem_id 0
		.amdhsa_next_free_vgpr 33
		.amdhsa_next_free_sgpr 20
		.amdhsa_reserve_vcc 1
		.amdhsa_float_round_mode_32 0
		.amdhsa_float_round_mode_16_64 0
		.amdhsa_float_denorm_mode_32 3
		.amdhsa_float_denorm_mode_16_64 3
		.amdhsa_dx10_clamp 1
		.amdhsa_ieee_mode 1
		.amdhsa_fp16_overflow 0
		.amdhsa_workgroup_processor_mode 1
		.amdhsa_memory_ordered 1
		.amdhsa_forward_progress 0
		.amdhsa_shared_vgpr_count 0
		.amdhsa_exception_fp_ieee_invalid_op 0
		.amdhsa_exception_fp_denorm_src 0
		.amdhsa_exception_fp_ieee_div_zero 0
		.amdhsa_exception_fp_ieee_overflow 0
		.amdhsa_exception_fp_ieee_underflow 0
		.amdhsa_exception_fp_ieee_inexact 0
		.amdhsa_exception_int_div_zero 0
	.end_amdhsa_kernel
	.section	.text._ZN2at6native12_GLOBAL__N_125multi_tensor_apply_kernelINS1_18TensorListMetadataILi2EEENS1_22TernaryOpScalarFunctorIN3c108BFloat16ELi2ELi2ELi0EEEJNS0_11LerpFunctorIfEEfEEEvT_T0_DpT1_,"axG",@progbits,_ZN2at6native12_GLOBAL__N_125multi_tensor_apply_kernelINS1_18TensorListMetadataILi2EEENS1_22TernaryOpScalarFunctorIN3c108BFloat16ELi2ELi2ELi0EEEJNS0_11LerpFunctorIfEEfEEEvT_T0_DpT1_,comdat
.Lfunc_end23:
	.size	_ZN2at6native12_GLOBAL__N_125multi_tensor_apply_kernelINS1_18TensorListMetadataILi2EEENS1_22TernaryOpScalarFunctorIN3c108BFloat16ELi2ELi2ELi0EEEJNS0_11LerpFunctorIfEEfEEEvT_T0_DpT1_, .Lfunc_end23-_ZN2at6native12_GLOBAL__N_125multi_tensor_apply_kernelINS1_18TensorListMetadataILi2EEENS1_22TernaryOpScalarFunctorIN3c108BFloat16ELi2ELi2ELi0EEEJNS0_11LerpFunctorIfEEfEEEvT_T0_DpT1_
                                        ; -- End function
	.section	.AMDGPU.csdata,"",@progbits
; Kernel info:
; codeLenInByte = 2332
; NumSgprs: 22
; NumVgprs: 33
; ScratchSize: 0
; MemoryBound: 0
; FloatMode: 240
; IeeeMode: 1
; LDSByteSize: 0 bytes/workgroup (compile time only)
; SGPRBlocks: 2
; VGPRBlocks: 4
; NumSGPRsForWavesPerEU: 22
; NumVGPRsForWavesPerEU: 33
; Occupancy: 16
; WaveLimiterHint : 0
; COMPUTE_PGM_RSRC2:SCRATCH_EN: 0
; COMPUTE_PGM_RSRC2:USER_SGPR: 15
; COMPUTE_PGM_RSRC2:TRAP_HANDLER: 0
; COMPUTE_PGM_RSRC2:TGID_X_EN: 1
; COMPUTE_PGM_RSRC2:TGID_Y_EN: 0
; COMPUTE_PGM_RSRC2:TGID_Z_EN: 0
; COMPUTE_PGM_RSRC2:TIDIG_COMP_CNT: 0
	.section	.text._ZN2at6native12_GLOBAL__N_125multi_tensor_apply_kernelINS1_28TensorListScalarListMetadataIdLi3EEENS1_26TernaryOpScalarListFunctorIdLi3ELi2ELi2EEEJNS0_11LerpFunctorIdEEEEEvT_T0_DpT1_,"axG",@progbits,_ZN2at6native12_GLOBAL__N_125multi_tensor_apply_kernelINS1_28TensorListScalarListMetadataIdLi3EEENS1_26TernaryOpScalarListFunctorIdLi3ELi2ELi2EEEJNS0_11LerpFunctorIdEEEEEvT_T0_DpT1_,comdat
	.globl	_ZN2at6native12_GLOBAL__N_125multi_tensor_apply_kernelINS1_28TensorListScalarListMetadataIdLi3EEENS1_26TernaryOpScalarListFunctorIdLi3ELi2ELi2EEEJNS0_11LerpFunctorIdEEEEEvT_T0_DpT1_ ; -- Begin function _ZN2at6native12_GLOBAL__N_125multi_tensor_apply_kernelINS1_28TensorListScalarListMetadataIdLi3EEENS1_26TernaryOpScalarListFunctorIdLi3ELi2ELi2EEEJNS0_11LerpFunctorIdEEEEEvT_T0_DpT1_
	.p2align	8
	.type	_ZN2at6native12_GLOBAL__N_125multi_tensor_apply_kernelINS1_28TensorListScalarListMetadataIdLi3EEENS1_26TernaryOpScalarListFunctorIdLi3ELi2ELi2EEEJNS0_11LerpFunctorIdEEEEEvT_T0_DpT1_,@function
_ZN2at6native12_GLOBAL__N_125multi_tensor_apply_kernelINS1_28TensorListScalarListMetadataIdLi3EEENS1_26TernaryOpScalarListFunctorIdLi3ELi2ELi2EEEJNS0_11LerpFunctorIdEEEEEvT_T0_DpT1_: ; @_ZN2at6native12_GLOBAL__N_125multi_tensor_apply_kernelINS1_28TensorListScalarListMetadataIdLi3EEENS1_26TernaryOpScalarListFunctorIdLi3ELi2ELi2EEEJNS0_11LerpFunctorIdEEEEEvT_T0_DpT1_
; %bb.0:
	v_mov_b32_e32 v1, s15
	s_add_u32 s2, s0, s15
	s_mul_hi_u32 s3, s15, 3
	s_mul_i32 s15, s15, 3
	s_addc_u32 s4, s1, 0
	global_load_u8 v1, v1, s[0:1] offset:1920
	s_add_u32 s2, s2, s15
	s_addc_u32 s3, s4, s3
	s_mov_b32 s25, 0
	s_load_b32 s8, s[2:3], 0x8c0
	s_mov_b32 s27, s25
	s_waitcnt lgkmcnt(0)
	s_ashr_i32 s9, s8, 31
	s_delay_alu instid0(SALU_CYCLE_1) | instskip(SKIP_2) | instid1(VALU_DEP_1)
	s_lshl_b64 s[6:7], s[8:9], 19
	s_waitcnt vmcnt(0)
	v_readfirstlane_b32 s5, v1
	s_lshl_b32 s2, s5, 3
	s_clause 0x4
	s_load_b64 s[12:13], s[0:1], s2 offset:0x0
	s_load_b64 s[14:15], s[0:1], s2 offset:0x180
	;; [unrolled: 1-line block ×5, first 2 shown]
	s_waitcnt lgkmcnt(0)
	s_add_u32 s3, s12, s6
	s_addc_u32 s10, s13, s7
	s_and_b32 s24, s3, 31
	s_add_u32 s11, s14, s6
	s_addc_u32 s18, s15, s7
	s_add_u32 s19, s16, s6
	s_addc_u32 s20, s17, s7
	s_or_b32 s2, s19, s11
	s_delay_alu instid0(SALU_CYCLE_1) | instskip(NEXT) | instid1(SALU_CYCLE_1)
	s_and_b32 s2, s2, 31
	s_cmp_lg_u32 s2, 0
	s_cselect_b32 s2, -1, 0
	s_lshl_b64 s[8:9], s[8:9], 16
	s_delay_alu instid0(SALU_CYCLE_1) | instskip(SKIP_2) | instid1(SALU_CYCLE_1)
	s_sub_u32 s8, s22, s8
	s_subb_u32 s9, s23, s9
	s_and_b32 s26, s22, 3
	s_or_b64 s[22:23], s[24:25], s[26:27]
	s_delay_alu instid0(SALU_CYCLE_1) | instskip(SKIP_1) | instid1(SALU_CYCLE_1)
	s_cmp_lg_u64 s[22:23], 0
	s_cselect_b32 s21, -1, 0
	s_or_b32 s2, s2, s21
	s_delay_alu instid0(SALU_CYCLE_1)
	s_and_not1_b32 vcc_lo, exec_lo, s2
	s_mov_b32 s2, -1
	s_cbranch_vccz .LBB24_21
; %bb.1:
	v_dual_mov_b32 v18, 0 :: v_dual_lshlrev_b32 v17, 2, v0
	s_mov_b32 s21, exec_lo
	s_delay_alu instid0(VALU_DEP_1)
	v_cmpx_gt_i64_e64 s[8:9], v[17:18]
	s_cbranch_execz .LBB24_20
; %bb.2:
	v_add_f64 v[19:20], -s[4:5], 1.0
	v_cmp_nlt_f64_e64 s22, |s[4:5]|, 0.5
	s_load_b32 s2, s[0:1], 0xdd4
	v_lshlrev_b32_e32 v23, 5, v0
	s_mov_b32 s23, 0
	s_waitcnt lgkmcnt(0)
	s_and_b32 s2, s2, 0xffff
	s_delay_alu instid0(SALU_CYCLE_1)
	v_add_lshl_u32 v17, v0, s2, 2
	s_lshl_b32 s24, s2, 2
	s_lshl_b32 s25, s2, 5
	s_branch .LBB24_4
.LBB24_3:                               ;   in Loop: Header=BB24_4 Depth=1
	v_cmp_le_i64_e32 vcc_lo, s[8:9], v[17:18]
	v_cmp_lt_u64_e64 s2, 0xffff, v[17:18]
	v_add_co_u32 v5, s26, s19, v23
	s_delay_alu instid0(VALU_DEP_1)
	v_add_co_ci_u32_e64 v6, null, s20, 0, s26
	s_clause 0x1
	global_store_b128 v[5:6], v[1:4], off
	global_store_b128 v[5:6], v[9:12], off offset:16
	s_or_b32 s2, vcc_lo, s2
	s_add_u32 s3, s3, s25
	s_addc_u32 s10, s10, 0
	s_add_u32 s19, s19, s25
	v_add_co_u32 v17, vcc_lo, v17, s24
	s_addc_u32 s20, s20, 0
	s_add_u32 s11, s11, s25
	v_add_co_ci_u32_e32 v18, vcc_lo, 0, v18, vcc_lo
	s_addc_u32 s18, s18, 0
	s_and_b32 s2, exec_lo, s2
	s_delay_alu instid0(SALU_CYCLE_1) | instskip(NEXT) | instid1(SALU_CYCLE_1)
	s_or_b32 s23, s2, s23
	s_and_not1_b32 exec_lo, exec_lo, s23
	s_cbranch_execz .LBB24_20
.LBB24_4:                               ; =>This Inner Loop Header: Depth=1
	v_add_co_u32 v5, s2, s3, v23
	s_delay_alu instid0(VALU_DEP_1) | instskip(SKIP_1) | instid1(VALU_DEP_1)
	v_add_co_ci_u32_e64 v6, null, s10, 0, s2
	v_add_co_u32 v9, s2, s11, v23
	v_add_co_ci_u32_e64 v10, null, s18, 0, s2
	global_load_b128 v[13:16], v[5:6], off
	global_load_b128 v[1:4], v[9:10], off
	global_load_b128 v[5:8], v[5:6], off offset:16
	global_load_b128 v[9:12], v[9:10], off offset:16
	s_and_b32 vcc_lo, exec_lo, s22
	s_waitcnt vmcnt(2)
	v_add_f64 v[21:22], v[1:2], -v[13:14]
	s_cbranch_vccz .LBB24_6
; %bb.5:                                ;   in Loop: Header=BB24_4 Depth=1
	s_delay_alu instid0(VALU_DEP_1)
	v_fma_f64 v[1:2], -v[19:20], v[21:22], v[1:2]
	s_cbranch_execz .LBB24_7
	s_branch .LBB24_8
.LBB24_6:                               ;   in Loop: Header=BB24_4 Depth=1
                                        ; implicit-def: $vgpr1_vgpr2
.LBB24_7:                               ;   in Loop: Header=BB24_4 Depth=1
	s_delay_alu instid0(VALU_DEP_1)
	v_fma_f64 v[1:2], s[4:5], v[21:22], v[13:14]
.LBB24_8:                               ;   in Loop: Header=BB24_4 Depth=1
	v_add_f64 v[13:14], v[3:4], -v[15:16]
	s_and_not1_b32 vcc_lo, exec_lo, s22
	s_cbranch_vccnz .LBB24_10
; %bb.9:                                ;   in Loop: Header=BB24_4 Depth=1
	s_delay_alu instid0(VALU_DEP_1)
	v_fma_f64 v[3:4], -v[19:20], v[13:14], v[3:4]
	s_cbranch_execz .LBB24_11
	s_branch .LBB24_12
.LBB24_10:                              ;   in Loop: Header=BB24_4 Depth=1
.LBB24_11:                              ;   in Loop: Header=BB24_4 Depth=1
	s_delay_alu instid0(VALU_DEP_1)
	v_fma_f64 v[3:4], s[4:5], v[13:14], v[15:16]
.LBB24_12:                              ;   in Loop: Header=BB24_4 Depth=1
	s_waitcnt vmcnt(0)
	v_add_f64 v[13:14], v[9:10], -v[5:6]
	s_and_not1_b32 vcc_lo, exec_lo, s22
	s_cbranch_vccnz .LBB24_14
; %bb.13:                               ;   in Loop: Header=BB24_4 Depth=1
	s_delay_alu instid0(VALU_DEP_1)
	v_fma_f64 v[9:10], -v[19:20], v[13:14], v[9:10]
	s_cbranch_execz .LBB24_15
	s_branch .LBB24_16
.LBB24_14:                              ;   in Loop: Header=BB24_4 Depth=1
                                        ; implicit-def: $vgpr9_vgpr10
.LBB24_15:                              ;   in Loop: Header=BB24_4 Depth=1
	s_delay_alu instid0(VALU_DEP_1)
	v_fma_f64 v[9:10], s[4:5], v[13:14], v[5:6]
.LBB24_16:                              ;   in Loop: Header=BB24_4 Depth=1
	v_add_f64 v[5:6], v[11:12], -v[7:8]
	s_and_not1_b32 vcc_lo, exec_lo, s22
	s_cbranch_vccnz .LBB24_18
; %bb.17:                               ;   in Loop: Header=BB24_4 Depth=1
	s_delay_alu instid0(VALU_DEP_1)
	v_fma_f64 v[11:12], -v[19:20], v[5:6], v[11:12]
	s_cbranch_execnz .LBB24_3
	s_branch .LBB24_19
.LBB24_18:                              ;   in Loop: Header=BB24_4 Depth=1
.LBB24_19:                              ;   in Loop: Header=BB24_4 Depth=1
	s_delay_alu instid0(VALU_DEP_1)
	v_fma_f64 v[11:12], s[4:5], v[5:6], v[7:8]
	s_branch .LBB24_3
.LBB24_20:
	s_or_b32 exec_lo, exec_lo, s21
	s_mov_b32 s2, 0
.LBB24_21:
	s_delay_alu instid0(SALU_CYCLE_1)
	s_and_not1_b32 vcc_lo, exec_lo, s2
	s_cbranch_vccnz .LBB24_57
; %bb.22:
	v_cmp_lt_i64_e64 s2, s[8:9], 1
	s_delay_alu instid0(VALU_DEP_1)
	s_and_b32 vcc_lo, exec_lo, s2
	s_cbranch_vccnz .LBB24_57
; %bb.23:
	s_load_b32 s0, s[0:1], 0xdd4
	v_dual_mov_b32 v4, 0 :: v_dual_lshlrev_b32 v3, 3, v0
	v_cmp_nlt_f64_e64 s18, |s[4:5]|, 0.5
	v_add_f64 v[1:2], -s[4:5], 1.0
	v_cmp_gt_u64_e64 s1, 0x10000, s[8:9]
	s_delay_alu instid0(VALU_DEP_4) | instskip(NEXT) | instid1(VALU_DEP_1)
	v_add_co_u32 v21, s2, s12, v3
	v_add_co_ci_u32_e64 v22, null, s13, 0, s2
	v_add_co_u32 v23, s2, s14, v3
	s_delay_alu instid0(VALU_DEP_1) | instskip(SKIP_1) | instid1(VALU_DEP_1)
	v_add_co_ci_u32_e64 v24, null, s15, 0, s2
	v_add_co_u32 v25, s2, s16, v3
	v_add_co_ci_u32_e64 v26, null, s17, 0, s2
	s_waitcnt lgkmcnt(0)
	s_and_b32 s0, s0, 0xffff
	s_and_b32 s1, s1, exec_lo
	v_mad_u64_u32 v[5:6], null, s0, 24, v[3:4]
	s_cselect_b32 s11, s9, 0
	s_cselect_b32 s10, s8, 0x10000
	s_lshl_b32 s3, s0, 4
	s_mul_i32 s2, s0, 3
	v_add_co_u32 v3, s3, s3, v3
	s_delay_alu instid0(VALU_DEP_2) | instskip(NEXT) | instid1(VALU_DEP_3)
	v_add_co_u32 v27, vcc_lo, s12, v5
	v_add_co_ci_u32_e32 v28, vcc_lo, s13, v6, vcc_lo
	v_add_co_u32 v29, vcc_lo, s14, v5
	v_add_co_ci_u32_e32 v30, vcc_lo, s15, v6, vcc_lo
	v_add_co_u32 v31, vcc_lo, s16, v5
	v_add_co_ci_u32_e64 v4, null, 0, 0, s3
	v_add_co_ci_u32_e32 v32, vcc_lo, s17, v6, vcc_lo
	v_add_co_u32 v33, s2, s2, v0
	v_add_co_u32 v35, vcc_lo, s12, v3
	v_add_co_ci_u32_e64 v34, null, 0, 0, s2
	v_add_co_u32 v39, s2, v0, s0
	v_add_co_ci_u32_e32 v36, vcc_lo, s13, v4, vcc_lo
	v_add_co_u32 v37, vcc_lo, s14, v3
	v_add_co_ci_u32_e32 v38, vcc_lo, s15, v4, vcc_lo
	v_add_co_u32 v40, vcc_lo, s16, v3
	v_lshlrev_b32_e32 v3, 3, v39
	s_lshl_b32 s1, s0, 1
	v_add_co_ci_u32_e32 v41, vcc_lo, s17, v4, vcc_lo
	v_add_co_u32 v43, s1, s1, v0
	s_delay_alu instid0(VALU_DEP_1) | instskip(SKIP_1) | instid1(VALU_DEP_1)
	v_add_co_ci_u32_e64 v44, null, 0, 0, s1
	v_add_co_u32 v45, s1, s12, v3
	v_add_co_ci_u32_e64 v46, null, s13, 0, s1
	v_add_co_u32 v47, s1, s14, v3
	s_delay_alu instid0(VALU_DEP_1)
	v_add_co_ci_u32_e64 v48, null, s15, 0, s1
	v_add_co_u32 v49, s1, s16, v3
	v_add_co_ci_u32_e64 v42, null, 0, 0, s2
	v_add_co_ci_u32_e64 v50, null, s17, 0, s1
	s_lshl_b32 s14, s0, 2
	s_lshl_b32 s15, s0, 5
	s_mov_b64 s[12:13], 0
	s_branch .LBB24_25
.LBB24_24:                              ;   in Loop: Header=BB24_25 Depth=1
	s_or_b32 exec_lo, exec_lo, s0
	v_add_co_u32 v21, vcc_lo, v21, s15
	v_add_co_ci_u32_e32 v22, vcc_lo, 0, v22, vcc_lo
	v_add_co_u32 v23, vcc_lo, v23, s15
	v_add_co_ci_u32_e32 v24, vcc_lo, 0, v24, vcc_lo
	;; [unrolled: 2-line block ×9, first 2 shown]
	s_add_u32 s12, s12, s14
	v_add_co_u32 v45, vcc_lo, v45, s15
	s_addc_u32 s13, s13, 0
	v_add_co_ci_u32_e32 v46, vcc_lo, 0, v46, vcc_lo
	v_cmp_ge_i64_e64 s0, s[12:13], s[8:9]
	v_cmp_lt_u64_e64 s1, 0xffff, s[12:13]
	v_add_co_u32 v47, vcc_lo, v47, s15
	v_add_co_ci_u32_e32 v48, vcc_lo, 0, v48, vcc_lo
	v_add_co_u32 v49, vcc_lo, v49, s15
	v_add_co_ci_u32_e32 v50, vcc_lo, 0, v50, vcc_lo
	s_or_b32 s0, s0, s1
	s_delay_alu instid0(SALU_CYCLE_1)
	s_and_b32 vcc_lo, exec_lo, s0
	s_cbranch_vccnz .LBB24_57
.LBB24_25:                              ; =>This Inner Loop Header: Depth=1
	v_add_co_u32 v5, s0, v0, s12
	s_delay_alu instid0(VALU_DEP_1) | instskip(SKIP_2) | instid1(VALU_DEP_3)
	v_add_co_ci_u32_e64 v6, null, 0, s13, s0
	v_mov_b32_e32 v3, 0
	v_mov_b32_e32 v4, 0
	v_cmp_gt_u64_e64 s0, s[10:11], v[5:6]
	s_delay_alu instid0(VALU_DEP_2) | instskip(SKIP_1) | instid1(VALU_DEP_3)
	v_dual_mov_b32 v8, v4 :: v_dual_mov_b32 v7, v3
	v_dual_mov_b32 v12, v4 :: v_dual_mov_b32 v11, v3
	s_and_saveexec_b32 s1, s0
	s_cbranch_execz .LBB24_27
; %bb.26:                               ;   in Loop: Header=BB24_25 Depth=1
	v_add_co_u32 v5, vcc_lo, v21, s6
	v_add_co_ci_u32_e32 v6, vcc_lo, s7, v22, vcc_lo
	v_add_co_u32 v9, vcc_lo, v23, s6
	v_add_co_ci_u32_e32 v10, vcc_lo, s7, v24, vcc_lo
	global_load_b64 v[7:8], v[5:6], off
	global_load_b64 v[11:12], v[9:10], off
.LBB24_27:                              ;   in Loop: Header=BB24_25 Depth=1
	s_or_b32 exec_lo, exec_lo, s1
	v_add_co_u32 v5, vcc_lo, v39, s12
	v_add_co_ci_u32_e32 v6, vcc_lo, s13, v42, vcc_lo
	v_dual_mov_b32 v14, v4 :: v_dual_mov_b32 v13, v3
	s_delay_alu instid0(VALU_DEP_2) | instskip(NEXT) | instid1(VALU_DEP_1)
	v_cmp_gt_u64_e64 s1, s[10:11], v[5:6]
	s_and_saveexec_b32 s2, s1
	s_cbranch_execz .LBB24_29
; %bb.28:                               ;   in Loop: Header=BB24_25 Depth=1
	v_add_co_u32 v3, vcc_lo, v45, s6
	v_add_co_ci_u32_e32 v4, vcc_lo, s7, v46, vcc_lo
	v_add_co_u32 v5, vcc_lo, v47, s6
	v_add_co_ci_u32_e32 v6, vcc_lo, s7, v48, vcc_lo
	global_load_b64 v[3:4], v[3:4], off
	global_load_b64 v[13:14], v[5:6], off
.LBB24_29:                              ;   in Loop: Header=BB24_25 Depth=1
	s_or_b32 exec_lo, exec_lo, s2
	v_add_co_u32 v9, vcc_lo, v43, s12
	v_add_co_ci_u32_e32 v10, vcc_lo, s13, v44, vcc_lo
	v_mov_b32_e32 v5, 0
	v_mov_b32_e32 v6, 0
	s_delay_alu instid0(VALU_DEP_3) | instskip(NEXT) | instid1(VALU_DEP_2)
	v_cmp_gt_u64_e64 s2, s[10:11], v[9:10]
	v_dual_mov_b32 v10, v6 :: v_dual_mov_b32 v9, v5
	v_dual_mov_b32 v16, v6 :: v_dual_mov_b32 v15, v5
	s_delay_alu instid0(VALU_DEP_3)
	s_and_saveexec_b32 s3, s2
	s_cbranch_execz .LBB24_31
; %bb.30:                               ;   in Loop: Header=BB24_25 Depth=1
	v_add_co_u32 v9, vcc_lo, v35, s6
	v_add_co_ci_u32_e32 v10, vcc_lo, s7, v36, vcc_lo
	v_add_co_u32 v15, vcc_lo, v37, s6
	v_add_co_ci_u32_e32 v16, vcc_lo, s7, v38, vcc_lo
	global_load_b64 v[9:10], v[9:10], off
	global_load_b64 v[15:16], v[15:16], off
.LBB24_31:                              ;   in Loop: Header=BB24_25 Depth=1
	s_or_b32 exec_lo, exec_lo, s3
	v_add_co_u32 v17, vcc_lo, v33, s12
	v_add_co_ci_u32_e32 v18, vcc_lo, s13, v34, vcc_lo
	s_delay_alu instid0(VALU_DEP_1) | instskip(SKIP_1) | instid1(VALU_DEP_2)
	v_cmp_gt_u64_e64 s3, s[10:11], v[17:18]
	v_dual_mov_b32 v18, v6 :: v_dual_mov_b32 v17, v5
	s_and_saveexec_b32 s16, s3
	s_cbranch_execz .LBB24_33
; %bb.32:                               ;   in Loop: Header=BB24_25 Depth=1
	v_add_co_u32 v5, vcc_lo, v27, s6
	v_add_co_ci_u32_e32 v6, vcc_lo, s7, v28, vcc_lo
	v_add_co_u32 v17, vcc_lo, v29, s6
	v_add_co_ci_u32_e32 v18, vcc_lo, s7, v30, vcc_lo
	global_load_b64 v[5:6], v[5:6], off
	global_load_b64 v[17:18], v[17:18], off
.LBB24_33:                              ;   in Loop: Header=BB24_25 Depth=1
	s_or_b32 exec_lo, exec_lo, s16
	s_waitcnt vmcnt(0)
	v_add_f64 v[19:20], v[11:12], -v[7:8]
	s_and_b32 vcc_lo, exec_lo, s18
	s_cbranch_vccz .LBB24_49
; %bb.34:                               ;   in Loop: Header=BB24_25 Depth=1
	s_delay_alu instid0(VALU_DEP_1)
	v_fma_f64 v[11:12], -v[1:2], v[19:20], v[11:12]
	s_cbranch_execnz .LBB24_36
.LBB24_35:                              ;   in Loop: Header=BB24_25 Depth=1
	s_delay_alu instid0(VALU_DEP_1)
	v_fma_f64 v[11:12], s[4:5], v[19:20], v[7:8]
.LBB24_36:                              ;   in Loop: Header=BB24_25 Depth=1
	v_add_f64 v[19:20], v[13:14], -v[3:4]
	s_and_not1_b32 vcc_lo, exec_lo, s18
	s_cbranch_vccnz .LBB24_50
; %bb.37:                               ;   in Loop: Header=BB24_25 Depth=1
	s_delay_alu instid0(VALU_DEP_1)
	v_fma_f64 v[7:8], -v[1:2], v[19:20], v[13:14]
	s_cbranch_execnz .LBB24_39
.LBB24_38:                              ;   in Loop: Header=BB24_25 Depth=1
	s_delay_alu instid0(VALU_DEP_1)
	v_fma_f64 v[7:8], s[4:5], v[19:20], v[3:4]
.LBB24_39:                              ;   in Loop: Header=BB24_25 Depth=1
	v_add_f64 v[13:14], v[15:16], -v[9:10]
	s_and_not1_b32 vcc_lo, exec_lo, s18
	s_cbranch_vccnz .LBB24_51
; %bb.40:                               ;   in Loop: Header=BB24_25 Depth=1
	s_delay_alu instid0(VALU_DEP_1)
	v_fma_f64 v[3:4], -v[1:2], v[13:14], v[15:16]
	s_cbranch_execnz .LBB24_42
.LBB24_41:                              ;   in Loop: Header=BB24_25 Depth=1
	s_delay_alu instid0(VALU_DEP_1)
	v_fma_f64 v[3:4], s[4:5], v[13:14], v[9:10]
.LBB24_42:                              ;   in Loop: Header=BB24_25 Depth=1
	v_add_f64 v[13:14], v[17:18], -v[5:6]
	s_and_not1_b32 vcc_lo, exec_lo, s18
	s_cbranch_vccnz .LBB24_52
; %bb.43:                               ;   in Loop: Header=BB24_25 Depth=1
	s_delay_alu instid0(VALU_DEP_1)
	v_fma_f64 v[9:10], -v[1:2], v[13:14], v[17:18]
	s_cbranch_execnz .LBB24_45
.LBB24_44:                              ;   in Loop: Header=BB24_25 Depth=1
	s_delay_alu instid0(VALU_DEP_1)
	v_fma_f64 v[9:10], s[4:5], v[13:14], v[5:6]
.LBB24_45:                              ;   in Loop: Header=BB24_25 Depth=1
	s_and_saveexec_b32 s16, s0
	s_delay_alu instid0(SALU_CYCLE_1)
	s_xor_b32 s0, exec_lo, s16
	s_cbranch_execnz .LBB24_53
; %bb.46:                               ;   in Loop: Header=BB24_25 Depth=1
	s_or_b32 exec_lo, exec_lo, s0
	s_and_saveexec_b32 s0, s1
	s_cbranch_execnz .LBB24_54
.LBB24_47:                              ;   in Loop: Header=BB24_25 Depth=1
	s_or_b32 exec_lo, exec_lo, s0
	s_and_saveexec_b32 s0, s2
	s_cbranch_execnz .LBB24_55
.LBB24_48:                              ;   in Loop: Header=BB24_25 Depth=1
	s_or_b32 exec_lo, exec_lo, s0
	s_and_saveexec_b32 s0, s3
	s_cbranch_execz .LBB24_24
	s_branch .LBB24_56
.LBB24_49:                              ;   in Loop: Header=BB24_25 Depth=1
                                        ; implicit-def: $vgpr11_vgpr12
	s_branch .LBB24_35
.LBB24_50:                              ;   in Loop: Header=BB24_25 Depth=1
                                        ; implicit-def: $vgpr7_vgpr8
	s_branch .LBB24_38
.LBB24_51:                              ;   in Loop: Header=BB24_25 Depth=1
                                        ; implicit-def: $vgpr3_vgpr4
	s_branch .LBB24_41
.LBB24_52:                              ;   in Loop: Header=BB24_25 Depth=1
                                        ; implicit-def: $vgpr9_vgpr10
	s_branch .LBB24_44
.LBB24_53:                              ;   in Loop: Header=BB24_25 Depth=1
	v_add_co_u32 v5, vcc_lo, v25, s6
	v_add_co_ci_u32_e32 v6, vcc_lo, s7, v26, vcc_lo
	global_store_b64 v[5:6], v[11:12], off
	s_or_b32 exec_lo, exec_lo, s0
	s_and_saveexec_b32 s0, s1
	s_cbranch_execz .LBB24_47
.LBB24_54:                              ;   in Loop: Header=BB24_25 Depth=1
	v_add_co_u32 v5, vcc_lo, v49, s6
	v_add_co_ci_u32_e32 v6, vcc_lo, s7, v50, vcc_lo
	global_store_b64 v[5:6], v[7:8], off
	s_or_b32 exec_lo, exec_lo, s0
	s_and_saveexec_b32 s0, s2
	s_cbranch_execz .LBB24_48
.LBB24_55:                              ;   in Loop: Header=BB24_25 Depth=1
	v_add_co_u32 v5, vcc_lo, v40, s6
	v_add_co_ci_u32_e32 v6, vcc_lo, s7, v41, vcc_lo
	global_store_b64 v[5:6], v[3:4], off
	s_or_b32 exec_lo, exec_lo, s0
	s_and_saveexec_b32 s0, s3
	s_cbranch_execz .LBB24_24
.LBB24_56:                              ;   in Loop: Header=BB24_25 Depth=1
	v_add_co_u32 v3, vcc_lo, v31, s6
	v_add_co_ci_u32_e32 v4, vcc_lo, s7, v32, vcc_lo
	global_store_b64 v[3:4], v[9:10], off
	s_branch .LBB24_24
.LBB24_57:
	s_nop 0
	s_sendmsg sendmsg(MSG_DEALLOC_VGPRS)
	s_endpgm
	.section	.rodata,"a",@progbits
	.p2align	6, 0x0
	.amdhsa_kernel _ZN2at6native12_GLOBAL__N_125multi_tensor_apply_kernelINS1_28TensorListScalarListMetadataIdLi3EEENS1_26TernaryOpScalarListFunctorIdLi3ELi2ELi2EEEJNS0_11LerpFunctorIdEEEEEvT_T0_DpT1_
		.amdhsa_group_segment_fixed_size 0
		.amdhsa_private_segment_fixed_size 0
		.amdhsa_kernarg_size 3784
		.amdhsa_user_sgpr_count 15
		.amdhsa_user_sgpr_dispatch_ptr 0
		.amdhsa_user_sgpr_queue_ptr 0
		.amdhsa_user_sgpr_kernarg_segment_ptr 1
		.amdhsa_user_sgpr_dispatch_id 0
		.amdhsa_user_sgpr_private_segment_size 0
		.amdhsa_wavefront_size32 1
		.amdhsa_uses_dynamic_stack 0
		.amdhsa_enable_private_segment 0
		.amdhsa_system_sgpr_workgroup_id_x 1
		.amdhsa_system_sgpr_workgroup_id_y 0
		.amdhsa_system_sgpr_workgroup_id_z 0
		.amdhsa_system_sgpr_workgroup_info 0
		.amdhsa_system_vgpr_workitem_id 0
		.amdhsa_next_free_vgpr 51
		.amdhsa_next_free_sgpr 28
		.amdhsa_reserve_vcc 1
		.amdhsa_float_round_mode_32 0
		.amdhsa_float_round_mode_16_64 0
		.amdhsa_float_denorm_mode_32 3
		.amdhsa_float_denorm_mode_16_64 3
		.amdhsa_dx10_clamp 1
		.amdhsa_ieee_mode 1
		.amdhsa_fp16_overflow 0
		.amdhsa_workgroup_processor_mode 1
		.amdhsa_memory_ordered 1
		.amdhsa_forward_progress 0
		.amdhsa_shared_vgpr_count 0
		.amdhsa_exception_fp_ieee_invalid_op 0
		.amdhsa_exception_fp_denorm_src 0
		.amdhsa_exception_fp_ieee_div_zero 0
		.amdhsa_exception_fp_ieee_overflow 0
		.amdhsa_exception_fp_ieee_underflow 0
		.amdhsa_exception_fp_ieee_inexact 0
		.amdhsa_exception_int_div_zero 0
	.end_amdhsa_kernel
	.section	.text._ZN2at6native12_GLOBAL__N_125multi_tensor_apply_kernelINS1_28TensorListScalarListMetadataIdLi3EEENS1_26TernaryOpScalarListFunctorIdLi3ELi2ELi2EEEJNS0_11LerpFunctorIdEEEEEvT_T0_DpT1_,"axG",@progbits,_ZN2at6native12_GLOBAL__N_125multi_tensor_apply_kernelINS1_28TensorListScalarListMetadataIdLi3EEENS1_26TernaryOpScalarListFunctorIdLi3ELi2ELi2EEEJNS0_11LerpFunctorIdEEEEEvT_T0_DpT1_,comdat
.Lfunc_end24:
	.size	_ZN2at6native12_GLOBAL__N_125multi_tensor_apply_kernelINS1_28TensorListScalarListMetadataIdLi3EEENS1_26TernaryOpScalarListFunctorIdLi3ELi2ELi2EEEJNS0_11LerpFunctorIdEEEEEvT_T0_DpT1_, .Lfunc_end24-_ZN2at6native12_GLOBAL__N_125multi_tensor_apply_kernelINS1_28TensorListScalarListMetadataIdLi3EEENS1_26TernaryOpScalarListFunctorIdLi3ELi2ELi2EEEJNS0_11LerpFunctorIdEEEEEvT_T0_DpT1_
                                        ; -- End function
	.section	.AMDGPU.csdata,"",@progbits
; Kernel info:
; codeLenInByte = 2076
; NumSgprs: 30
; NumVgprs: 51
; ScratchSize: 0
; MemoryBound: 1
; FloatMode: 240
; IeeeMode: 1
; LDSByteSize: 0 bytes/workgroup (compile time only)
; SGPRBlocks: 3
; VGPRBlocks: 6
; NumSGPRsForWavesPerEU: 30
; NumVGPRsForWavesPerEU: 51
; Occupancy: 16
; WaveLimiterHint : 1
; COMPUTE_PGM_RSRC2:SCRATCH_EN: 0
; COMPUTE_PGM_RSRC2:USER_SGPR: 15
; COMPUTE_PGM_RSRC2:TRAP_HANDLER: 0
; COMPUTE_PGM_RSRC2:TGID_X_EN: 1
; COMPUTE_PGM_RSRC2:TGID_Y_EN: 0
; COMPUTE_PGM_RSRC2:TGID_Z_EN: 0
; COMPUTE_PGM_RSRC2:TIDIG_COMP_CNT: 0
	.section	.text._ZN2at6native12_GLOBAL__N_125multi_tensor_apply_kernelINS1_28TensorListScalarListMetadataIfLi3EEENS1_26TernaryOpScalarListFunctorIfLi3ELi2ELi2EEEJNS0_11LerpFunctorIfEEEEEvT_T0_DpT1_,"axG",@progbits,_ZN2at6native12_GLOBAL__N_125multi_tensor_apply_kernelINS1_28TensorListScalarListMetadataIfLi3EEENS1_26TernaryOpScalarListFunctorIfLi3ELi2ELi2EEEJNS0_11LerpFunctorIfEEEEEvT_T0_DpT1_,comdat
	.globl	_ZN2at6native12_GLOBAL__N_125multi_tensor_apply_kernelINS1_28TensorListScalarListMetadataIfLi3EEENS1_26TernaryOpScalarListFunctorIfLi3ELi2ELi2EEEJNS0_11LerpFunctorIfEEEEEvT_T0_DpT1_ ; -- Begin function _ZN2at6native12_GLOBAL__N_125multi_tensor_apply_kernelINS1_28TensorListScalarListMetadataIfLi3EEENS1_26TernaryOpScalarListFunctorIfLi3ELi2ELi2EEEJNS0_11LerpFunctorIfEEEEEvT_T0_DpT1_
	.p2align	8
	.type	_ZN2at6native12_GLOBAL__N_125multi_tensor_apply_kernelINS1_28TensorListScalarListMetadataIfLi3EEENS1_26TernaryOpScalarListFunctorIfLi3ELi2ELi2EEEJNS0_11LerpFunctorIfEEEEEvT_T0_DpT1_,@function
_ZN2at6native12_GLOBAL__N_125multi_tensor_apply_kernelINS1_28TensorListScalarListMetadataIfLi3EEENS1_26TernaryOpScalarListFunctorIfLi3ELi2ELi2EEEJNS0_11LerpFunctorIfEEEEEvT_T0_DpT1_: ; @_ZN2at6native12_GLOBAL__N_125multi_tensor_apply_kernelINS1_28TensorListScalarListMetadataIfLi3EEENS1_26TernaryOpScalarListFunctorIfLi3ELi2ELi2EEEJNS0_11LerpFunctorIfEEEEEvT_T0_DpT1_
; %bb.0:
	v_mov_b32_e32 v1, s15
	s_add_u32 s2, s0, s15
	s_mul_i32 s3, s15, 3
	s_mul_hi_u32 s4, s15, 3
	s_addc_u32 s5, s1, 0
	global_load_u8 v1, v1, s[0:1] offset:1728
	s_add_u32 s2, s2, s3
	s_addc_u32 s3, s5, s4
	s_mov_b32 s25, 0
	s_load_b32 s2, s[2:3], 0x800
	s_waitcnt vmcnt(0)
	v_readfirstlane_b32 s3, v1
	v_lshlrev_b32_e32 v1, 2, v1
	s_delay_alu instid0(VALU_DEP_2)
	s_lshl_b32 s6, s3, 3
	s_waitcnt lgkmcnt(0)
	s_ashr_i32 s3, s2, 31
	s_clause 0x3
	s_load_b64 s[12:13], s[0:1], s6 offset:0x0
	s_load_b64 s[14:15], s[0:1], s6 offset:0x180
	s_load_b64 s[16:17], s[0:1], s6 offset:0x300
	s_load_b64 s[4:5], s[0:1], s6 offset:0x480
	s_add_u32 s8, s0, s6
	s_addc_u32 s9, s1, 0
	s_lshl_b64 s[6:7], s[2:3], 18
	v_sub_co_u32 v1, s8, s8, v1
	s_delay_alu instid0(VALU_DEP_1) | instskip(NEXT) | instid1(VALU_DEP_2)
	v_sub_co_ci_u32_e64 v2, null, s9, 0, s8
	v_readfirstlane_b32 s22, v1
	s_delay_alu instid0(VALU_DEP_2)
	v_readfirstlane_b32 s23, v2
	s_waitcnt lgkmcnt(0)
	s_add_u32 s10, s12, s6
	s_addc_u32 s11, s13, s7
	s_and_b32 s24, s10, 15
	s_add_u32 s18, s14, s6
	s_addc_u32 s19, s15, s7
	s_add_u32 s20, s16, s6
	s_addc_u32 s21, s17, s7
	s_or_b32 s8, s20, s18
	s_delay_alu instid0(SALU_CYCLE_1) | instskip(NEXT) | instid1(SALU_CYCLE_1)
	s_and_b32 s8, s8, 15
	s_cmp_lg_u32 s8, 0
	s_cselect_b32 s26, -1, 0
	s_lshl_b64 s[2:3], s[2:3], 16
	s_delay_alu instid0(SALU_CYCLE_1) | instskip(SKIP_3) | instid1(SALU_CYCLE_1)
	s_sub_u32 s8, s4, s2
	s_subb_u32 s9, s5, s3
	s_load_b32 s5, s[22:23], 0x600
	s_and_b32 s2, s4, 3
	s_or_b32 s24, s24, s2
	s_delay_alu instid0(SALU_CYCLE_1) | instskip(SKIP_1) | instid1(SALU_CYCLE_1)
	s_cmp_lg_u64 s[24:25], 0
	s_cselect_b32 s2, -1, 0
	s_or_b32 s2, s26, s2
	s_delay_alu instid0(SALU_CYCLE_1)
	s_and_not1_b32 vcc_lo, exec_lo, s2
	s_mov_b32 s2, -1
	s_cbranch_vccz .LBB25_5
; %bb.1:
	v_dual_mov_b32 v2, 0 :: v_dual_lshlrev_b32 v1, 2, v0
	s_mov_b32 s22, exec_lo
	s_delay_alu instid0(VALU_DEP_1)
	v_cmpx_gt_i64_e64 s[8:9], v[1:2]
	s_cbranch_execz .LBB25_4
; %bb.2:
	s_load_b32 s2, s[0:1], 0xd14
	s_waitcnt lgkmcnt(0)
	v_cmp_lt_f32_e64 vcc_lo, |s5|, 0.5
	v_sub_f32_e64 v3, 1.0, s5
	v_lshlrev_b32_e32 v4, 4, v0
	s_mov_b32 s23, 0
	s_and_b32 s2, s2, 0xffff
	s_delay_alu instid0(SALU_CYCLE_1)
	v_add_lshl_u32 v1, v0, s2, 2
	s_lshl_b32 s24, s2, 2
	s_lshl_b32 s25, s2, 4
.LBB25_3:                               ; =>This Inner Loop Header: Depth=1
	v_add_co_u32 v5, s2, s10, v4
	s_delay_alu instid0(VALU_DEP_1) | instskip(SKIP_1) | instid1(VALU_DEP_1)
	v_add_co_ci_u32_e64 v6, null, s11, 0, s2
	v_add_co_u32 v9, s2, s18, v4
	v_add_co_ci_u32_e64 v10, null, s19, 0, s2
	global_load_b128 v[5:8], v[5:6], off
	global_load_b128 v[9:12], v[9:10], off
	v_cmp_le_i64_e64 s2, s[8:9], v[1:2]
	v_cmp_lt_u64_e64 s3, 0xffff, v[1:2]
	v_add_co_u32 v13, s4, s20, v4
	s_delay_alu instid0(VALU_DEP_1) | instskip(SKIP_1) | instid1(VALU_DEP_4)
	v_add_co_ci_u32_e64 v14, null, s21, 0, s4
	v_add_co_u32 v1, s4, v1, s24
	s_or_b32 s2, s2, s3
	s_add_u32 s10, s10, s25
	s_addc_u32 s11, s11, 0
	s_add_u32 s20, s20, s25
	s_addc_u32 s21, s21, 0
	s_add_u32 s18, s18, s25
	v_add_co_ci_u32_e64 v2, s4, 0, v2, s4
	s_addc_u32 s19, s19, 0
	s_and_b32 s2, exec_lo, s2
	s_delay_alu instid0(SALU_CYCLE_1) | instskip(SKIP_3) | instid1(VALU_DEP_2)
	s_or_b32 s23, s2, s23
	s_waitcnt vmcnt(0)
	v_dual_sub_f32 v15, v9, v5 :: v_dual_sub_f32 v16, v10, v6
	v_dual_sub_f32 v17, v11, v7 :: v_dual_sub_f32 v18, v12, v8
	v_fma_f32 v5, s5, v15, v5
	v_fma_f32 v9, -v3, v15, v9
	s_delay_alu instid0(VALU_DEP_4)
	v_fma_f32 v6, s5, v16, v6
	v_fma_f32 v10, -v3, v16, v10
	v_fma_f32 v7, s5, v17, v7
	v_fma_f32 v11, -v3, v17, v11
	v_dual_fmac_f32 v8, s5, v18 :: v_dual_cndmask_b32 v5, v9, v5
	v_fma_f32 v12, -v3, v18, v12
	s_delay_alu instid0(VALU_DEP_3) | instskip(NEXT) | instid1(VALU_DEP_2)
	v_dual_cndmask_b32 v6, v10, v6 :: v_dual_cndmask_b32 v7, v11, v7
	v_cndmask_b32_e32 v8, v12, v8, vcc_lo
	global_store_b128 v[13:14], v[5:8], off
	s_and_not1_b32 exec_lo, exec_lo, s23
	s_cbranch_execnz .LBB25_3
.LBB25_4:
	s_or_b32 exec_lo, exec_lo, s22
	s_mov_b32 s2, 0
.LBB25_5:
	s_delay_alu instid0(SALU_CYCLE_1)
	s_and_not1_b32 vcc_lo, exec_lo, s2
	s_cbranch_vccnz .LBB25_25
; %bb.6:
	v_cmp_lt_i64_e64 s2, s[8:9], 1
	s_delay_alu instid0(VALU_DEP_1)
	s_and_b32 vcc_lo, exec_lo, s2
	s_cbranch_vccnz .LBB25_25
; %bb.7:
	s_load_b32 s1, s[0:1], 0xd14
	v_dual_mov_b32 v15, 0 :: v_dual_lshlrev_b32 v14, 2, v0
	v_cmp_gt_u64_e64 s2, 0x10000, s[8:9]
	s_waitcnt lgkmcnt(0)
	v_cmp_lt_f32_e64 s0, |s5|, 0.5
	v_sub_f32_e64 v1, 1.0, s5
	v_add_co_u32 v2, s3, s12, v14
	s_delay_alu instid0(VALU_DEP_1) | instskip(SKIP_1) | instid1(VALU_DEP_1)
	v_add_co_ci_u32_e64 v3, null, s13, 0, s3
	v_add_co_u32 v4, s3, s14, v14
	v_add_co_ci_u32_e64 v5, null, s15, 0, s3
	v_add_co_u32 v6, s3, s16, v14
	s_delay_alu instid0(VALU_DEP_1)
	v_add_co_ci_u32_e64 v7, null, s17, 0, s3
	s_and_b32 s1, s1, 0xffff
	s_and_b32 s2, s2, exec_lo
	v_mad_u64_u32 v[12:13], null, s1, 12, v[14:15]
	s_cselect_b32 s11, s9, 0
	s_cselect_b32 s10, s8, 0x10000
	s_mul_i32 s3, s1, 3
	s_lshl_b32 s4, s1, 3
	s_lshl_b32 s2, s1, 1
	v_add_co_u32 v21, s4, s4, v14
	v_add_co_u32 v14, s3, s3, v0
	v_add_co_u32 v8, vcc_lo, s12, v12
	v_add_co_ci_u32_e64 v15, null, 0, 0, s3
	v_add_co_u32 v20, s3, v0, s1
	v_add_co_ci_u32_e32 v9, vcc_lo, s13, v13, vcc_lo
	v_add_co_u32 v10, vcc_lo, s14, v12
	v_add_co_ci_u32_e32 v11, vcc_lo, s15, v13, vcc_lo
	v_add_co_u32 v12, vcc_lo, s16, v12
	v_add_co_ci_u32_e64 v22, null, 0, 0, s4
	v_lshlrev_b32_e32 v30, 2, v20
	v_add_co_ci_u32_e32 v13, vcc_lo, s17, v13, vcc_lo
	v_add_co_u32 v16, vcc_lo, s12, v21
	v_add_co_u32 v24, s2, s2, v0
	v_add_co_ci_u32_e32 v17, vcc_lo, s13, v22, vcc_lo
	v_add_co_ci_u32_e64 v25, null, 0, 0, s2
	v_add_co_u32 v26, s2, s12, v30
	v_add_co_u32 v18, vcc_lo, s14, v21
	v_add_co_ci_u32_e64 v27, null, s13, 0, s2
	v_add_co_u32 v28, s2, s14, v30
	v_add_co_ci_u32_e32 v19, vcc_lo, s15, v22, vcc_lo
	v_add_co_u32 v21, vcc_lo, s16, v21
	v_add_co_ci_u32_e64 v29, null, s15, 0, s2
	v_add_co_u32 v30, s2, s16, v30
	v_add_co_ci_u32_e32 v22, vcc_lo, s17, v22, vcc_lo
	v_add_co_ci_u32_e64 v23, null, 0, 0, s3
	v_add_co_ci_u32_e64 v31, null, s17, 0, s2
	s_lshl_b32 s14, s1, 2
	s_lshl_b32 s15, s1, 4
	s_mov_b64 s[12:13], 0
	s_branch .LBB25_9
.LBB25_8:                               ;   in Loop: Header=BB25_9 Depth=1
	s_or_b32 exec_lo, exec_lo, s1
	v_add_co_u32 v2, vcc_lo, v2, s15
	v_add_co_ci_u32_e32 v3, vcc_lo, 0, v3, vcc_lo
	v_add_co_u32 v4, vcc_lo, v4, s15
	v_add_co_ci_u32_e32 v5, vcc_lo, 0, v5, vcc_lo
	v_add_co_u32 v6, vcc_lo, v6, s15
	v_add_co_ci_u32_e32 v7, vcc_lo, 0, v7, vcc_lo
	v_add_co_u32 v8, vcc_lo, v8, s15
	v_add_co_ci_u32_e32 v9, vcc_lo, 0, v9, vcc_lo
	v_add_co_u32 v10, vcc_lo, v10, s15
	v_add_co_ci_u32_e32 v11, vcc_lo, 0, v11, vcc_lo
	v_add_co_u32 v12, vcc_lo, v12, s15
	v_add_co_ci_u32_e32 v13, vcc_lo, 0, v13, vcc_lo
	v_add_co_u32 v16, vcc_lo, v16, s15
	v_add_co_ci_u32_e32 v17, vcc_lo, 0, v17, vcc_lo
	v_add_co_u32 v18, vcc_lo, v18, s15
	v_add_co_ci_u32_e32 v19, vcc_lo, 0, v19, vcc_lo
	v_add_co_u32 v21, vcc_lo, v21, s15
	v_add_co_ci_u32_e32 v22, vcc_lo, 0, v22, vcc_lo
	s_add_u32 s12, s12, s14
	v_add_co_u32 v26, vcc_lo, v26, s15
	s_addc_u32 s13, s13, 0
	v_add_co_ci_u32_e32 v27, vcc_lo, 0, v27, vcc_lo
	v_cmp_ge_i64_e64 s1, s[12:13], s[8:9]
	v_cmp_lt_u64_e64 s2, 0xffff, s[12:13]
	v_add_co_u32 v28, vcc_lo, v28, s15
	v_add_co_ci_u32_e32 v29, vcc_lo, 0, v29, vcc_lo
	v_add_co_u32 v30, vcc_lo, v30, s15
	v_add_co_ci_u32_e32 v31, vcc_lo, 0, v31, vcc_lo
	s_or_b32 s1, s1, s2
	s_delay_alu instid0(SALU_CYCLE_1)
	s_and_b32 vcc_lo, exec_lo, s1
	s_cbranch_vccnz .LBB25_25
.LBB25_9:                               ; =>This Inner Loop Header: Depth=1
	s_waitcnt vmcnt(1)
	v_add_co_u32 v32, s1, v0, s12
	s_delay_alu instid0(VALU_DEP_1) | instskip(SKIP_2) | instid1(VALU_DEP_2)
	v_add_co_ci_u32_e64 v33, null, 0, s13, s1
	s_waitcnt vmcnt(0)
	v_mov_b32_e32 v34, 0
	v_cmp_gt_u64_e32 vcc_lo, s[10:11], v[32:33]
	v_mov_b32_e32 v33, 0
	s_and_saveexec_b32 s2, vcc_lo
	s_cbranch_execz .LBB25_11
; %bb.10:                               ;   in Loop: Header=BB25_9 Depth=1
	v_add_co_u32 v32, s1, v2, s6
	s_delay_alu instid0(VALU_DEP_1) | instskip(SKIP_1) | instid1(VALU_DEP_1)
	v_add_co_ci_u32_e64 v33, s1, s7, v3, s1
	v_add_co_u32 v34, s1, v4, s6
	v_add_co_ci_u32_e64 v35, s1, s7, v5, s1
	global_load_b32 v33, v[32:33], off
	global_load_b32 v34, v[34:35], off
.LBB25_11:                              ;   in Loop: Header=BB25_9 Depth=1
	s_or_b32 exec_lo, exec_lo, s2
	v_add_co_u32 v35, s1, v20, s12
	s_delay_alu instid0(VALU_DEP_1) | instskip(SKIP_1) | instid1(VALU_DEP_2)
	v_add_co_ci_u32_e64 v36, s1, s13, v23, s1
	v_mov_b32_e32 v32, 0
	v_cmp_gt_u64_e64 s1, s[10:11], v[35:36]
	v_dual_mov_b32 v35, 0 :: v_dual_mov_b32 v36, 0
	s_delay_alu instid0(VALU_DEP_2)
	s_and_saveexec_b32 s3, s1
	s_cbranch_execz .LBB25_13
; %bb.12:                               ;   in Loop: Header=BB25_9 Depth=1
	v_add_co_u32 v35, s2, v26, s6
	s_delay_alu instid0(VALU_DEP_1) | instskip(SKIP_1) | instid1(VALU_DEP_1)
	v_add_co_ci_u32_e64 v36, s2, s7, v27, s2
	v_add_co_u32 v37, s2, v28, s6
	v_add_co_ci_u32_e64 v38, s2, s7, v29, s2
	global_load_b32 v35, v[35:36], off
	global_load_b32 v36, v[37:38], off
.LBB25_13:                              ;   in Loop: Header=BB25_9 Depth=1
	s_or_b32 exec_lo, exec_lo, s3
	v_add_co_u32 v37, s2, v24, s12
	s_delay_alu instid0(VALU_DEP_1) | instskip(NEXT) | instid1(VALU_DEP_1)
	v_add_co_ci_u32_e64 v38, s2, s13, v25, s2
	v_cmp_gt_u64_e64 s2, s[10:11], v[37:38]
	v_mov_b32_e32 v37, 0
	s_delay_alu instid0(VALU_DEP_2)
	s_and_saveexec_b32 s4, s2
	s_cbranch_execz .LBB25_15
; %bb.14:                               ;   in Loop: Header=BB25_9 Depth=1
	v_add_co_u32 v37, s3, v16, s6
	s_delay_alu instid0(VALU_DEP_1) | instskip(SKIP_1) | instid1(VALU_DEP_1)
	v_add_co_ci_u32_e64 v38, s3, s7, v17, s3
	v_add_co_u32 v39, s3, v18, s6
	v_add_co_ci_u32_e64 v40, s3, s7, v19, s3
	global_load_b32 v32, v[37:38], off
	global_load_b32 v37, v[39:40], off
.LBB25_15:                              ;   in Loop: Header=BB25_9 Depth=1
	s_or_b32 exec_lo, exec_lo, s4
	v_add_co_u32 v38, s3, v14, s12
	s_delay_alu instid0(VALU_DEP_1) | instskip(NEXT) | instid1(VALU_DEP_1)
	v_add_co_ci_u32_e64 v39, s3, s13, v15, s3
	v_cmp_gt_u64_e64 s3, s[10:11], v[38:39]
	v_dual_mov_b32 v38, 0 :: v_dual_mov_b32 v39, 0
	s_delay_alu instid0(VALU_DEP_2)
	s_and_saveexec_b32 s16, s3
	s_cbranch_execnz .LBB25_20
; %bb.16:                               ;   in Loop: Header=BB25_9 Depth=1
	s_or_b32 exec_lo, exec_lo, s16
	s_and_saveexec_b32 s4, vcc_lo
	s_cbranch_execnz .LBB25_21
.LBB25_17:                              ;   in Loop: Header=BB25_9 Depth=1
	s_or_b32 exec_lo, exec_lo, s4
	s_and_saveexec_b32 s4, s1
	s_cbranch_execnz .LBB25_22
.LBB25_18:                              ;   in Loop: Header=BB25_9 Depth=1
	s_or_b32 exec_lo, exec_lo, s4
	s_and_saveexec_b32 s1, s2
	s_cbranch_execnz .LBB25_23
.LBB25_19:                              ;   in Loop: Header=BB25_9 Depth=1
	s_or_b32 exec_lo, exec_lo, s1
	s_and_saveexec_b32 s1, s3
	s_cbranch_execz .LBB25_8
	s_branch .LBB25_24
.LBB25_20:                              ;   in Loop: Header=BB25_9 Depth=1
	v_add_co_u32 v38, s4, v8, s6
	s_delay_alu instid0(VALU_DEP_1) | instskip(SKIP_1) | instid1(VALU_DEP_1)
	v_add_co_ci_u32_e64 v39, s4, s7, v9, s4
	v_add_co_u32 v40, s4, v10, s6
	v_add_co_ci_u32_e64 v41, s4, s7, v11, s4
	global_load_b32 v38, v[38:39], off
	global_load_b32 v39, v[40:41], off
	s_or_b32 exec_lo, exec_lo, s16
	s_and_saveexec_b32 s4, vcc_lo
	s_cbranch_execz .LBB25_17
.LBB25_21:                              ;   in Loop: Header=BB25_9 Depth=1
	s_waitcnt vmcnt(0)
	v_sub_f32_e32 v40, v34, v33
	s_delay_alu instid0(VALU_DEP_1) | instskip(SKIP_3) | instid1(VALU_DEP_3)
	v_fmac_f32_e32 v33, s5, v40
	v_fma_f32 v34, -v1, v40, v34
	v_add_co_u32 v40, vcc_lo, v6, s6
	v_add_co_ci_u32_e32 v41, vcc_lo, s7, v7, vcc_lo
	v_cndmask_b32_e64 v33, v34, v33, s0
	global_store_b32 v[40:41], v33, off
	s_or_b32 exec_lo, exec_lo, s4
	s_and_saveexec_b32 s4, s1
	s_cbranch_execz .LBB25_18
.LBB25_22:                              ;   in Loop: Header=BB25_9 Depth=1
	s_waitcnt vmcnt(0)
	v_sub_f32_e32 v33, v36, v35
	s_delay_alu instid0(VALU_DEP_1) | instskip(SKIP_1) | instid1(VALU_DEP_1)
	v_fmac_f32_e32 v35, s5, v33
	v_fma_f32 v33, -v1, v33, v36
	v_cndmask_b32_e64 v35, v33, v35, s0
	v_add_co_u32 v33, vcc_lo, v30, s6
	v_add_co_ci_u32_e32 v34, vcc_lo, s7, v31, vcc_lo
	global_store_b32 v[33:34], v35, off
	s_or_b32 exec_lo, exec_lo, s4
	s_and_saveexec_b32 s1, s2
	s_cbranch_execz .LBB25_19
.LBB25_23:                              ;   in Loop: Header=BB25_9 Depth=1
	s_waitcnt vmcnt(0)
	v_sub_f32_e32 v33, v37, v32
	s_delay_alu instid0(VALU_DEP_1) | instskip(SKIP_1) | instid1(VALU_DEP_1)
	v_fmac_f32_e32 v32, s5, v33
	v_fma_f32 v33, -v1, v33, v37
	v_cndmask_b32_e64 v34, v33, v32, s0
	v_add_co_u32 v32, vcc_lo, v21, s6
	v_add_co_ci_u32_e32 v33, vcc_lo, s7, v22, vcc_lo
	global_store_b32 v[32:33], v34, off
	s_or_b32 exec_lo, exec_lo, s1
	s_and_saveexec_b32 s1, s3
	s_cbranch_execz .LBB25_8
.LBB25_24:                              ;   in Loop: Header=BB25_9 Depth=1
	s_waitcnt vmcnt(0)
	v_sub_f32_e32 v32, v39, v38
	s_delay_alu instid0(VALU_DEP_1) | instskip(SKIP_1) | instid1(VALU_DEP_1)
	v_fmac_f32_e32 v38, s5, v32
	v_fma_f32 v32, -v1, v32, v39
	v_cndmask_b32_e64 v34, v32, v38, s0
	v_add_co_u32 v32, vcc_lo, v12, s6
	v_add_co_ci_u32_e32 v33, vcc_lo, s7, v13, vcc_lo
	global_store_b32 v[32:33], v34, off
	s_branch .LBB25_8
.LBB25_25:
	s_nop 0
	s_sendmsg sendmsg(MSG_DEALLOC_VGPRS)
	s_endpgm
	.section	.rodata,"a",@progbits
	.p2align	6, 0x0
	.amdhsa_kernel _ZN2at6native12_GLOBAL__N_125multi_tensor_apply_kernelINS1_28TensorListScalarListMetadataIfLi3EEENS1_26TernaryOpScalarListFunctorIfLi3ELi2ELi2EEEJNS0_11LerpFunctorIfEEEEEvT_T0_DpT1_
		.amdhsa_group_segment_fixed_size 0
		.amdhsa_private_segment_fixed_size 0
		.amdhsa_kernarg_size 3592
		.amdhsa_user_sgpr_count 15
		.amdhsa_user_sgpr_dispatch_ptr 0
		.amdhsa_user_sgpr_queue_ptr 0
		.amdhsa_user_sgpr_kernarg_segment_ptr 1
		.amdhsa_user_sgpr_dispatch_id 0
		.amdhsa_user_sgpr_private_segment_size 0
		.amdhsa_wavefront_size32 1
		.amdhsa_uses_dynamic_stack 0
		.amdhsa_enable_private_segment 0
		.amdhsa_system_sgpr_workgroup_id_x 1
		.amdhsa_system_sgpr_workgroup_id_y 0
		.amdhsa_system_sgpr_workgroup_id_z 0
		.amdhsa_system_sgpr_workgroup_info 0
		.amdhsa_system_vgpr_workitem_id 0
		.amdhsa_next_free_vgpr 42
		.amdhsa_next_free_sgpr 27
		.amdhsa_reserve_vcc 1
		.amdhsa_float_round_mode_32 0
		.amdhsa_float_round_mode_16_64 0
		.amdhsa_float_denorm_mode_32 3
		.amdhsa_float_denorm_mode_16_64 3
		.amdhsa_dx10_clamp 1
		.amdhsa_ieee_mode 1
		.amdhsa_fp16_overflow 0
		.amdhsa_workgroup_processor_mode 1
		.amdhsa_memory_ordered 1
		.amdhsa_forward_progress 0
		.amdhsa_shared_vgpr_count 0
		.amdhsa_exception_fp_ieee_invalid_op 0
		.amdhsa_exception_fp_denorm_src 0
		.amdhsa_exception_fp_ieee_div_zero 0
		.amdhsa_exception_fp_ieee_overflow 0
		.amdhsa_exception_fp_ieee_underflow 0
		.amdhsa_exception_fp_ieee_inexact 0
		.amdhsa_exception_int_div_zero 0
	.end_amdhsa_kernel
	.section	.text._ZN2at6native12_GLOBAL__N_125multi_tensor_apply_kernelINS1_28TensorListScalarListMetadataIfLi3EEENS1_26TernaryOpScalarListFunctorIfLi3ELi2ELi2EEEJNS0_11LerpFunctorIfEEEEEvT_T0_DpT1_,"axG",@progbits,_ZN2at6native12_GLOBAL__N_125multi_tensor_apply_kernelINS1_28TensorListScalarListMetadataIfLi3EEENS1_26TernaryOpScalarListFunctorIfLi3ELi2ELi2EEEJNS0_11LerpFunctorIfEEEEEvT_T0_DpT1_,comdat
.Lfunc_end25:
	.size	_ZN2at6native12_GLOBAL__N_125multi_tensor_apply_kernelINS1_28TensorListScalarListMetadataIfLi3EEENS1_26TernaryOpScalarListFunctorIfLi3ELi2ELi2EEEJNS0_11LerpFunctorIfEEEEEvT_T0_DpT1_, .Lfunc_end25-_ZN2at6native12_GLOBAL__N_125multi_tensor_apply_kernelINS1_28TensorListScalarListMetadataIfLi3EEENS1_26TernaryOpScalarListFunctorIfLi3ELi2ELi2EEEJNS0_11LerpFunctorIfEEEEEvT_T0_DpT1_
                                        ; -- End function
	.section	.AMDGPU.csdata,"",@progbits
; Kernel info:
; codeLenInByte = 1952
; NumSgprs: 29
; NumVgprs: 42
; ScratchSize: 0
; MemoryBound: 0
; FloatMode: 240
; IeeeMode: 1
; LDSByteSize: 0 bytes/workgroup (compile time only)
; SGPRBlocks: 3
; VGPRBlocks: 5
; NumSGPRsForWavesPerEU: 29
; NumVGPRsForWavesPerEU: 42
; Occupancy: 16
; WaveLimiterHint : 0
; COMPUTE_PGM_RSRC2:SCRATCH_EN: 0
; COMPUTE_PGM_RSRC2:USER_SGPR: 15
; COMPUTE_PGM_RSRC2:TRAP_HANDLER: 0
; COMPUTE_PGM_RSRC2:TGID_X_EN: 1
; COMPUTE_PGM_RSRC2:TGID_Y_EN: 0
; COMPUTE_PGM_RSRC2:TGID_Z_EN: 0
; COMPUTE_PGM_RSRC2:TIDIG_COMP_CNT: 0
	.section	.text._ZN2at6native12_GLOBAL__N_125multi_tensor_apply_kernelINS1_28TensorListScalarListMetadataIN3c107complexIdEELi3EEENS1_26TernaryOpScalarListFunctorIS6_Li3ELi2ELi2EEEJNS0_11LerpFunctorIS6_EEEEEvT_T0_DpT1_,"axG",@progbits,_ZN2at6native12_GLOBAL__N_125multi_tensor_apply_kernelINS1_28TensorListScalarListMetadataIN3c107complexIdEELi3EEENS1_26TernaryOpScalarListFunctorIS6_Li3ELi2ELi2EEEJNS0_11LerpFunctorIS6_EEEEEvT_T0_DpT1_,comdat
	.globl	_ZN2at6native12_GLOBAL__N_125multi_tensor_apply_kernelINS1_28TensorListScalarListMetadataIN3c107complexIdEELi3EEENS1_26TernaryOpScalarListFunctorIS6_Li3ELi2ELi2EEEJNS0_11LerpFunctorIS6_EEEEEvT_T0_DpT1_ ; -- Begin function _ZN2at6native12_GLOBAL__N_125multi_tensor_apply_kernelINS1_28TensorListScalarListMetadataIN3c107complexIdEELi3EEENS1_26TernaryOpScalarListFunctorIS6_Li3ELi2ELi2EEEJNS0_11LerpFunctorIS6_EEEEEvT_T0_DpT1_
	.p2align	8
	.type	_ZN2at6native12_GLOBAL__N_125multi_tensor_apply_kernelINS1_28TensorListScalarListMetadataIN3c107complexIdEELi3EEENS1_26TernaryOpScalarListFunctorIS6_Li3ELi2ELi2EEEJNS0_11LerpFunctorIS6_EEEEEvT_T0_DpT1_,@function
_ZN2at6native12_GLOBAL__N_125multi_tensor_apply_kernelINS1_28TensorListScalarListMetadataIN3c107complexIdEELi3EEENS1_26TernaryOpScalarListFunctorIS6_Li3ELi2ELi2EEEJNS0_11LerpFunctorIS6_EEEEEvT_T0_DpT1_: ; @_ZN2at6native12_GLOBAL__N_125multi_tensor_apply_kernelINS1_28TensorListScalarListMetadataIN3c107complexIdEELi3EEENS1_26TernaryOpScalarListFunctorIS6_Li3ELi2ELi2EEEJNS0_11LerpFunctorIS6_EEEEEvT_T0_DpT1_
; %bb.0:
	v_mov_b32_e32 v1, s15
	s_add_u32 s2, s0, s15
	s_mul_i32 s3, s15, 3
	s_mul_hi_u32 s4, s15, 3
	s_addc_u32 s5, s1, 0
	global_load_u8 v1, v1, s[0:1] offset:2304
	s_add_u32 s2, s2, s3
	s_addc_u32 s3, s5, s4
	s_mov_b32 s25, 0
	s_load_b32 s2, s[2:3], 0xa40
	s_waitcnt lgkmcnt(0)
	s_ashr_i32 s3, s2, 31
	s_waitcnt vmcnt(0)
	v_readfirstlane_b32 s4, v1
	s_delay_alu instid0(VALU_DEP_1)
	s_lshl_b32 s24, s4, 3
	s_clause 0x3
	s_load_b64 s[4:5], s[0:1], s24 offset:0x0
	s_load_b64 s[18:19], s[0:1], s24 offset:0x180
	;; [unrolled: 1-line block ×4, first 2 shown]
	s_add_u32 s10, s0, s24
	s_addc_u32 s11, s1, 0
	s_lshl_b64 s[6:7], s[2:3], 20
	s_waitcnt lgkmcnt(0)
	s_add_u32 s14, s4, s6
	s_addc_u32 s15, s5, s7
	s_add_u32 s16, s18, s6
	s_addc_u32 s17, s19, s7
	;; [unrolled: 2-line block ×3, first 2 shown]
	s_or_b32 s12, s22, s16
	s_lshl_b64 s[2:3], s[2:3], 16
	s_and_b32 s12, s12, 63
	s_and_b32 s26, s14, 63
	s_cmp_lg_u32 s12, 0
	s_cselect_b32 s27, -1, 0
	s_sub_u32 s12, s8, s2
	s_subb_u32 s13, s9, s3
	s_and_b32 s2, s8, 3
	s_load_b128 s[8:11], s[10:11], s24 offset:0x600
	s_or_b32 s24, s26, s2
	s_delay_alu instid0(SALU_CYCLE_1) | instskip(SKIP_1) | instid1(SALU_CYCLE_1)
	s_cmp_lg_u64 s[24:25], 0
	s_cselect_b32 s2, -1, 0
	s_or_b32 s2, s27, s2
	s_delay_alu instid0(SALU_CYCLE_1)
	s_and_not1_b32 vcc_lo, exec_lo, s2
	s_mov_b32 s2, -1
	s_cbranch_vccz .LBB26_21
; %bb.1:
	v_dual_mov_b32 v34, 0 :: v_dual_lshlrev_b32 v33, 2, v0
	s_mov_b32 s24, exec_lo
	s_delay_alu instid0(VALU_DEP_1)
	v_cmpx_gt_i64_e64 s[12:13], v[33:34]
	s_cbranch_execz .LBB26_20
; %bb.2:
	s_waitcnt lgkmcnt(0)
	v_mul_f64 v[1:2], s[10:11], s[10:11]
	s_load_b32 s2, s[0:1], 0xf54
	v_add_f64 v[35:36], -s[8:9], 1.0
	v_add_f64 v[37:38], -s[10:11], 0
	v_lshlrev_b32_e32 v43, 6, v0
	s_waitcnt lgkmcnt(0)
	s_and_b32 s3, s2, 0xffff
	s_delay_alu instid0(SALU_CYCLE_1) | instskip(SKIP_3) | instid1(VALU_DEP_1)
	v_add_lshl_u32 v33, v0, s3, 2
	s_lshl_b32 s26, s3, 2
	s_lshl_b32 s27, s3, 6
	v_fma_f64 v[1:2], s[8:9], s[8:9], v[1:2]
	v_cmp_ngt_f64_e64 s2, 0x3fd00000, v[1:2]
	s_branch .LBB26_4
.LBB26_3:                               ;   in Loop: Header=BB26_4 Depth=1
	v_cmp_le_i64_e32 vcc_lo, s[12:13], v[33:34]
	v_cmp_lt_u64_e64 s3, 0xffff, v[33:34]
	v_add_co_u32 v5, s28, s22, v43
	s_delay_alu instid0(VALU_DEP_1)
	v_add_co_ci_u32_e64 v6, null, s23, 0, s28
	s_clause 0x1
	global_store_b128 v[5:6], v[1:4], off
	global_store_b128 v[5:6], v[9:12], off offset:16
	s_or_b32 s3, vcc_lo, s3
	s_add_u32 s14, s14, s27
	s_addc_u32 s15, s15, 0
	s_add_u32 s22, s22, s27
	v_add_co_u32 v33, vcc_lo, v33, s26
	s_addc_u32 s23, s23, 0
	s_add_u32 s16, s16, s27
	v_add_co_ci_u32_e32 v34, vcc_lo, 0, v34, vcc_lo
	s_addc_u32 s17, s17, 0
	s_and_b32 s3, exec_lo, s3
	s_clause 0x1
	global_store_b128 v[5:6], v[21:24], off offset:32
	global_store_b128 v[5:6], v[13:16], off offset:48
	s_or_b32 s25, s3, s25
	s_delay_alu instid0(SALU_CYCLE_1)
	s_and_not1_b32 exec_lo, exec_lo, s25
	s_cbranch_execz .LBB26_20
.LBB26_4:                               ; =>This Inner Loop Header: Depth=1
	v_add_co_u32 v13, s3, s14, v43
	s_delay_alu instid0(VALU_DEP_1) | instskip(SKIP_1) | instid1(VALU_DEP_1)
	v_add_co_ci_u32_e64 v14, null, s15, 0, s3
	v_add_co_u32 v21, s3, s16, v43
	v_add_co_ci_u32_e64 v22, null, s17, 0, s3
	global_load_b128 v[29:32], v[13:14], off
	global_load_b128 v[1:4], v[21:22], off
	global_load_b128 v[25:28], v[13:14], off offset:16
	global_load_b128 v[9:12], v[21:22], off offset:16
	s_clause 0x1
	global_load_b128 v[5:8], v[13:14], off offset:48
	global_load_b128 v[17:20], v[13:14], off offset:32
	s_clause 0x1
	global_load_b128 v[13:16], v[21:22], off offset:48
	global_load_b128 v[21:24], v[21:22], off offset:32
	s_and_b32 vcc_lo, exec_lo, s2
	s_waitcnt vmcnt(6)
	v_add_f64 v[39:40], v[1:2], -v[29:30]
	v_add_f64 v[41:42], v[3:4], -v[31:32]
	s_cbranch_vccz .LBB26_6
; %bb.5:                                ;   in Loop: Header=BB26_4 Depth=1
	s_delay_alu instid0(VALU_DEP_1) | instskip(SKIP_1) | instid1(VALU_DEP_2)
	v_mul_f64 v[44:45], v[37:38], v[41:42]
	v_mul_f64 v[46:47], v[35:36], v[41:42]
	v_fma_f64 v[44:45], v[35:36], v[39:40], -v[44:45]
	s_delay_alu instid0(VALU_DEP_2) | instskip(NEXT) | instid1(VALU_DEP_2)
	v_fma_f64 v[46:47], v[37:38], v[39:40], v[46:47]
	v_add_f64 v[1:2], v[1:2], -v[44:45]
	s_delay_alu instid0(VALU_DEP_2)
	v_add_f64 v[3:4], v[3:4], -v[46:47]
	s_cbranch_execz .LBB26_7
	s_branch .LBB26_8
.LBB26_6:                               ;   in Loop: Header=BB26_4 Depth=1
                                        ; implicit-def: $vgpr3_vgpr4
.LBB26_7:                               ;   in Loop: Header=BB26_4 Depth=1
	s_delay_alu instid0(VALU_DEP_1) | instskip(SKIP_1) | instid1(VALU_DEP_2)
	v_mul_f64 v[1:2], s[10:11], v[41:42]
	v_mul_f64 v[3:4], s[8:9], v[41:42]
	v_fma_f64 v[1:2], s[8:9], v[39:40], -v[1:2]
	s_delay_alu instid0(VALU_DEP_2) | instskip(NEXT) | instid1(VALU_DEP_2)
	v_fma_f64 v[3:4], s[10:11], v[39:40], v[3:4]
	v_add_f64 v[1:2], v[29:30], v[1:2]
	s_delay_alu instid0(VALU_DEP_2)
	v_add_f64 v[3:4], v[31:32], v[3:4]
.LBB26_8:                               ;   in Loop: Header=BB26_4 Depth=1
	s_waitcnt vmcnt(4)
	v_add_f64 v[29:30], v[9:10], -v[25:26]
	v_add_f64 v[31:32], v[11:12], -v[27:28]
	s_and_not1_b32 vcc_lo, exec_lo, s2
	s_cbranch_vccnz .LBB26_10
; %bb.9:                                ;   in Loop: Header=BB26_4 Depth=1
	s_delay_alu instid0(VALU_DEP_1) | instskip(SKIP_1) | instid1(VALU_DEP_2)
	v_mul_f64 v[39:40], v[37:38], v[31:32]
	v_mul_f64 v[41:42], v[35:36], v[31:32]
	v_fma_f64 v[39:40], v[35:36], v[29:30], -v[39:40]
	s_delay_alu instid0(VALU_DEP_2) | instskip(NEXT) | instid1(VALU_DEP_2)
	v_fma_f64 v[41:42], v[37:38], v[29:30], v[41:42]
	v_add_f64 v[9:10], v[9:10], -v[39:40]
	s_delay_alu instid0(VALU_DEP_2)
	v_add_f64 v[11:12], v[11:12], -v[41:42]
	s_cbranch_execz .LBB26_11
	s_branch .LBB26_12
.LBB26_10:                              ;   in Loop: Header=BB26_4 Depth=1
                                        ; implicit-def: $vgpr11_vgpr12
.LBB26_11:                              ;   in Loop: Header=BB26_4 Depth=1
	s_delay_alu instid0(VALU_DEP_1) | instskip(SKIP_1) | instid1(VALU_DEP_2)
	v_mul_f64 v[9:10], s[10:11], v[31:32]
	v_mul_f64 v[11:12], s[8:9], v[31:32]
	v_fma_f64 v[9:10], s[8:9], v[29:30], -v[9:10]
	s_delay_alu instid0(VALU_DEP_2) | instskip(NEXT) | instid1(VALU_DEP_2)
	v_fma_f64 v[11:12], s[10:11], v[29:30], v[11:12]
	v_add_f64 v[9:10], v[25:26], v[9:10]
	s_delay_alu instid0(VALU_DEP_2)
	v_add_f64 v[11:12], v[27:28], v[11:12]
.LBB26_12:                              ;   in Loop: Header=BB26_4 Depth=1
	s_waitcnt vmcnt(0)
	v_add_f64 v[25:26], v[21:22], -v[17:18]
	v_add_f64 v[27:28], v[23:24], -v[19:20]
	s_and_not1_b32 vcc_lo, exec_lo, s2
	s_cbranch_vccnz .LBB26_14
; %bb.13:                               ;   in Loop: Header=BB26_4 Depth=1
	s_delay_alu instid0(VALU_DEP_1) | instskip(SKIP_1) | instid1(VALU_DEP_2)
	v_mul_f64 v[29:30], v[37:38], v[27:28]
	v_mul_f64 v[31:32], v[35:36], v[27:28]
	v_fma_f64 v[29:30], v[35:36], v[25:26], -v[29:30]
	s_delay_alu instid0(VALU_DEP_2) | instskip(NEXT) | instid1(VALU_DEP_2)
	v_fma_f64 v[31:32], v[37:38], v[25:26], v[31:32]
	v_add_f64 v[21:22], v[21:22], -v[29:30]
	s_delay_alu instid0(VALU_DEP_2)
	v_add_f64 v[23:24], v[23:24], -v[31:32]
	s_cbranch_execz .LBB26_15
	s_branch .LBB26_16
.LBB26_14:                              ;   in Loop: Header=BB26_4 Depth=1
                                        ; implicit-def: $vgpr23_vgpr24
.LBB26_15:                              ;   in Loop: Header=BB26_4 Depth=1
	s_delay_alu instid0(VALU_DEP_1) | instskip(SKIP_1) | instid1(VALU_DEP_2)
	v_mul_f64 v[21:22], s[10:11], v[27:28]
	v_mul_f64 v[23:24], s[8:9], v[27:28]
	v_fma_f64 v[21:22], s[8:9], v[25:26], -v[21:22]
	s_delay_alu instid0(VALU_DEP_2) | instskip(NEXT) | instid1(VALU_DEP_2)
	v_fma_f64 v[23:24], s[10:11], v[25:26], v[23:24]
	v_add_f64 v[21:22], v[17:18], v[21:22]
	s_delay_alu instid0(VALU_DEP_2)
	v_add_f64 v[23:24], v[19:20], v[23:24]
.LBB26_16:                              ;   in Loop: Header=BB26_4 Depth=1
	v_add_f64 v[17:18], v[13:14], -v[5:6]
	v_add_f64 v[19:20], v[15:16], -v[7:8]
	s_and_not1_b32 vcc_lo, exec_lo, s2
	s_cbranch_vccnz .LBB26_18
; %bb.17:                               ;   in Loop: Header=BB26_4 Depth=1
	s_delay_alu instid0(VALU_DEP_1) | instskip(SKIP_1) | instid1(VALU_DEP_2)
	v_mul_f64 v[25:26], v[37:38], v[19:20]
	v_mul_f64 v[27:28], v[35:36], v[19:20]
	v_fma_f64 v[25:26], v[35:36], v[17:18], -v[25:26]
	s_delay_alu instid0(VALU_DEP_2) | instskip(NEXT) | instid1(VALU_DEP_2)
	v_fma_f64 v[27:28], v[37:38], v[17:18], v[27:28]
	v_add_f64 v[13:14], v[13:14], -v[25:26]
	s_delay_alu instid0(VALU_DEP_2)
	v_add_f64 v[15:16], v[15:16], -v[27:28]
	s_cbranch_execnz .LBB26_3
	s_branch .LBB26_19
.LBB26_18:                              ;   in Loop: Header=BB26_4 Depth=1
                                        ; implicit-def: $vgpr15_vgpr16
.LBB26_19:                              ;   in Loop: Header=BB26_4 Depth=1
	s_delay_alu instid0(VALU_DEP_1) | instskip(SKIP_1) | instid1(VALU_DEP_2)
	v_mul_f64 v[13:14], s[10:11], v[19:20]
	v_mul_f64 v[15:16], s[8:9], v[19:20]
	v_fma_f64 v[13:14], s[8:9], v[17:18], -v[13:14]
	s_delay_alu instid0(VALU_DEP_2) | instskip(NEXT) | instid1(VALU_DEP_2)
	v_fma_f64 v[15:16], s[10:11], v[17:18], v[15:16]
	v_add_f64 v[13:14], v[5:6], v[13:14]
	s_delay_alu instid0(VALU_DEP_2)
	v_add_f64 v[15:16], v[7:8], v[15:16]
	s_branch .LBB26_3
.LBB26_20:
	s_or_b32 exec_lo, exec_lo, s24
	s_mov_b32 s2, 0
.LBB26_21:
	s_delay_alu instid0(SALU_CYCLE_1)
	s_and_not1_b32 vcc_lo, exec_lo, s2
	s_cbranch_vccnz .LBB26_57
; %bb.22:
	v_cmp_lt_i64_e64 s2, s[12:13], 1
	s_delay_alu instid0(VALU_DEP_1)
	s_and_b32 vcc_lo, exec_lo, s2
	s_cbranch_vccnz .LBB26_57
; %bb.23:
	s_waitcnt lgkmcnt(0)
	v_mul_f64 v[1:2], s[10:11], s[10:11]
	s_load_b32 s0, s[0:1], 0xf54
	v_cmp_gt_u64_e64 s1, 0x10000, s[12:13]
	v_lshlrev_b32_e32 v8, 4, v0
	v_add_f64 v[34:35], -s[8:9], 1.0
	v_add_f64 v[36:37], -s[10:11], 0
	s_mov_b32 s15, 0
	s_waitcnt lgkmcnt(0)
	s_and_b32 s22, s0, 0xffff
	s_and_b32 s0, s1, exec_lo
	v_add_lshl_u32 v9, v0, s22, 4
	s_cselect_b32 s17, s13, 0
	s_cselect_b32 s16, s12, 0x10000
	s_lshl_b32 s14, s22, 2
	s_lshl_b32 s23, s22, 1
	v_add_co_u32 v48, s0, s20, v9
	s_delay_alu instid0(VALU_DEP_1) | instskip(SKIP_1) | instid1(VALU_DEP_1)
	v_add_co_ci_u32_e64 v49, null, s21, 0, s0
	v_add_co_u32 v50, s0, s4, v9
	v_add_co_ci_u32_e64 v51, null, s5, 0, s0
	v_add_co_u32 v54, s1, s18, v9
	v_fma_f64 v[2:3], s[8:9], s[8:9], v[1:2]
	v_mov_b32_e32 v1, 0
	v_or_b32_e32 v4, 8, v8
	v_add_co_ci_u32_e64 v55, null, s19, 0, s1
	s_lshl_b32 s1, s22, 5
	s_delay_alu instid0(VALU_DEP_3) | instskip(NEXT) | instid1(VALU_DEP_3)
	v_mov_b32_e32 v5, v1
	v_add_co_u32 v42, s2, s18, v4
	s_delay_alu instid0(VALU_DEP_1) | instskip(NEXT) | instid1(VALU_DEP_3)
	v_add_co_ci_u32_e64 v43, null, s19, 0, s2
	v_mad_u64_u32 v[6:7], null, s22, 48, v[4:5]
	v_add_co_u32 v44, s2, s4, v4
	s_delay_alu instid0(VALU_DEP_1) | instskip(SKIP_1) | instid1(VALU_DEP_4)
	v_add_co_ci_u32_e64 v45, null, s5, 0, s2
	v_add_co_u32 v46, s2, s20, v4
	v_add_co_u32 v52, vcc_lo, s18, v6
	v_add_co_ci_u32_e32 v53, vcc_lo, s19, v7, vcc_lo
	v_add_co_u32 v56, vcc_lo, s4, v6
	v_add_co_ci_u32_e32 v57, vcc_lo, s5, v7, vcc_lo
	;; [unrolled: 2-line block ×3, first 2 shown]
	v_add_co_ci_u32_e64 v47, null, s21, 0, s2
	s_mul_i32 s24, s22, 3
	v_cmp_ngt_f64_e64 s0, 0x3fd00000, v[2:3]
	v_add_co_u32 v2, s1, s1, v8
	s_delay_alu instid0(VALU_DEP_1) | instskip(NEXT) | instid1(VALU_DEP_2)
	v_add_co_ci_u32_e64 v3, null, 0, 0, s1
	v_or_b32_e32 v4, 8, v2
	v_add_co_u32 v60, vcc_lo, s20, v2
	s_delay_alu instid0(VALU_DEP_3) | instskip(NEXT) | instid1(VALU_DEP_3)
	v_add_co_ci_u32_e32 v61, vcc_lo, s21, v3, vcc_lo
	v_add_co_u32 v62, vcc_lo, s18, v4
	v_add_co_ci_u32_e32 v63, vcc_lo, s19, v3, vcc_lo
	v_add_co_u32 v64, vcc_lo, s4, v4
	v_add_co_ci_u32_e32 v65, vcc_lo, s5, v3, vcc_lo
	s_lshl_b32 s5, s22, 6
	s_mov_b64 s[18:19], s[14:15]
	s_branch .LBB26_25
.LBB26_24:                              ;   in Loop: Header=BB26_25 Depth=1
	s_or_b32 exec_lo, exec_lo, s1
	v_add_co_u32 v0, vcc_lo, v0, s14
	v_add_co_ci_u32_e32 v1, vcc_lo, 0, v1, vcc_lo
	v_add_co_u32 v42, vcc_lo, v42, s5
	v_add_co_ci_u32_e32 v43, vcc_lo, 0, v43, vcc_lo
	v_add_co_u32 v44, vcc_lo, v44, s5
	v_add_co_ci_u32_e32 v45, vcc_lo, 0, v45, vcc_lo
	v_add_co_u32 v48, vcc_lo, v48, s5
	v_add_co_ci_u32_e32 v49, vcc_lo, 0, v49, vcc_lo
	v_add_co_u32 v46, vcc_lo, v46, s5
	v_add_co_ci_u32_e32 v47, vcc_lo, 0, v47, vcc_lo
	v_add_co_u32 v50, vcc_lo, v50, s5
	v_add_co_ci_u32_e32 v51, vcc_lo, 0, v51, vcc_lo
	v_add_co_u32 v52, vcc_lo, v52, s5
	v_add_co_ci_u32_e32 v53, vcc_lo, 0, v53, vcc_lo
	v_add_co_u32 v54, vcc_lo, v54, s5
	v_add_co_ci_u32_e32 v55, vcc_lo, 0, v55, vcc_lo
	v_add_co_u32 v56, vcc_lo, v56, s5
	v_add_co_ci_u32_e32 v57, vcc_lo, 0, v57, vcc_lo
	v_add_co_u32 v58, vcc_lo, v58, s5
	v_add_co_ci_u32_e32 v59, vcc_lo, 0, v59, vcc_lo
	v_add_co_u32 v60, vcc_lo, v60, s5
	v_add_co_ci_u32_e32 v61, vcc_lo, 0, v61, vcc_lo
	v_cmp_ge_i64_e64 s1, s[18:19], s[12:13]
	v_cmp_lt_u64_e64 s2, 0xffff, s[18:19]
	v_add_co_u32 v62, vcc_lo, v62, s5
	v_add_co_ci_u32_e32 v63, vcc_lo, 0, v63, vcc_lo
	v_add_co_u32 v64, vcc_lo, v64, s5
	v_add_co_ci_u32_e32 v65, vcc_lo, 0, v65, vcc_lo
	s_or_b32 s1, s1, s2
	s_add_u32 s18, s18, s14
	s_addc_u32 s19, s19, 0
	s_and_b32 vcc_lo, exec_lo, s1
	s_cbranch_vccnz .LBB26_57
.LBB26_25:                              ; =>This Inner Loop Header: Depth=1
	v_mov_b32_e32 v4, 0
	v_mov_b32_e32 v5, 0
	v_cmp_gt_u64_e64 s1, s[16:17], v[0:1]
	s_delay_alu instid0(VALU_DEP_2)
	v_dual_mov_b32 v29, v5 :: v_dual_mov_b32 v28, v4
	v_dual_mov_b32 v27, v5 :: v_dual_mov_b32 v26, v4
	;; [unrolled: 1-line block ×4, first 2 shown]
	s_and_saveexec_b32 s2, s1
	s_cbranch_execz .LBB26_27
; %bb.26:                               ;   in Loop: Header=BB26_25 Depth=1
	v_add_co_u32 v2, vcc_lo, v44, s6
	v_add_co_ci_u32_e32 v3, vcc_lo, s7, v45, vcc_lo
	v_add_co_u32 v10, vcc_lo, v42, s6
	v_add_co_ci_u32_e32 v11, vcc_lo, s7, v43, vcc_lo
	global_load_b128 v[6:9], v[2:3], off offset:-8
	global_load_b128 v[26:29], v[10:11], off offset:-8
.LBB26_27:                              ;   in Loop: Header=BB26_25 Depth=1
	s_or_b32 exec_lo, exec_lo, s2
	v_add_co_u32 v10, vcc_lo, s22, v0
	v_add_co_ci_u32_e32 v11, vcc_lo, 0, v1, vcc_lo
	v_dual_mov_b32 v2, v4 :: v_dual_mov_b32 v3, v5
	v_dual_mov_b32 v13, v5 :: v_dual_mov_b32 v12, v4
	s_delay_alu instid0(VALU_DEP_3) | instskip(SKIP_1) | instid1(VALU_DEP_2)
	v_cmp_gt_u64_e64 s2, s[16:17], v[10:11]
	v_dual_mov_b32 v11, v5 :: v_dual_mov_b32 v10, v4
	s_and_saveexec_b32 s3, s2
	s_cbranch_execz .LBB26_29
; %bb.28:                               ;   in Loop: Header=BB26_25 Depth=1
	v_add_co_u32 v2, vcc_lo, v50, s6
	v_add_co_ci_u32_e32 v3, vcc_lo, s7, v51, vcc_lo
	v_add_co_u32 v4, vcc_lo, v54, s6
	v_add_co_ci_u32_e32 v5, vcc_lo, s7, v55, vcc_lo
	global_load_b128 v[10:13], v[2:3], off
	global_load_b128 v[2:5], v[4:5], off
.LBB26_29:                              ;   in Loop: Header=BB26_25 Depth=1
	s_or_b32 exec_lo, exec_lo, s3
	v_add_co_u32 v14, vcc_lo, s23, v0
	v_add_co_ci_u32_e32 v15, vcc_lo, 0, v1, vcc_lo
	v_mov_b32_e32 v16, 0
	v_mov_b32_e32 v17, 0
	s_delay_alu instid0(VALU_DEP_3) | instskip(NEXT) | instid1(VALU_DEP_2)
	v_cmp_gt_u64_e64 s3, s[16:17], v[14:15]
	v_dual_mov_b32 v33, v17 :: v_dual_mov_b32 v32, v16
	v_dual_mov_b32 v31, v17 :: v_dual_mov_b32 v30, v16
	;; [unrolled: 1-line block ×4, first 2 shown]
	s_and_saveexec_b32 s4, s3
	s_cbranch_execz .LBB26_31
; %bb.30:                               ;   in Loop: Header=BB26_25 Depth=1
	v_add_co_u32 v14, vcc_lo, v64, s6
	v_add_co_ci_u32_e32 v15, vcc_lo, s7, v65, vcc_lo
	v_add_co_u32 v22, vcc_lo, v62, s6
	v_add_co_ci_u32_e32 v23, vcc_lo, s7, v63, vcc_lo
	global_load_b128 v[18:21], v[14:15], off offset:-8
	global_load_b128 v[30:33], v[22:23], off offset:-8
.LBB26_31:                              ;   in Loop: Header=BB26_25 Depth=1
	s_or_b32 exec_lo, exec_lo, s4
	v_add_co_u32 v22, vcc_lo, s24, v0
	v_add_co_ci_u32_e32 v23, vcc_lo, 0, v1, vcc_lo
	v_dual_mov_b32 v14, v16 :: v_dual_mov_b32 v15, v17
	v_dual_mov_b32 v25, v17 :: v_dual_mov_b32 v24, v16
	s_delay_alu instid0(VALU_DEP_3) | instskip(SKIP_1) | instid1(VALU_DEP_2)
	v_cmp_gt_u64_e64 s4, s[16:17], v[22:23]
	v_dual_mov_b32 v23, v17 :: v_dual_mov_b32 v22, v16
	s_and_saveexec_b32 s15, s4
	s_cbranch_execz .LBB26_33
; %bb.32:                               ;   in Loop: Header=BB26_25 Depth=1
	v_add_co_u32 v14, vcc_lo, v56, s6
	v_add_co_ci_u32_e32 v15, vcc_lo, s7, v57, vcc_lo
	v_add_co_u32 v16, vcc_lo, v52, s6
	v_add_co_ci_u32_e32 v17, vcc_lo, s7, v53, vcc_lo
	global_load_b128 v[22:25], v[14:15], off offset:-8
	global_load_b128 v[14:17], v[16:17], off offset:-8
.LBB26_33:                              ;   in Loop: Header=BB26_25 Depth=1
	s_or_b32 exec_lo, exec_lo, s15
	s_waitcnt vmcnt(0)
	v_add_f64 v[38:39], v[26:27], -v[6:7]
	v_add_f64 v[40:41], v[28:29], -v[8:9]
	s_and_b32 vcc_lo, exec_lo, s0
	s_cbranch_vccz .LBB26_49
; %bb.34:                               ;   in Loop: Header=BB26_25 Depth=1
	s_delay_alu instid0(VALU_DEP_1) | instskip(NEXT) | instid1(VALU_DEP_3)
	v_mul_f64 v[66:67], v[36:37], v[40:41]
	v_mul_f64 v[68:69], v[36:37], v[38:39]
	s_delay_alu instid0(VALU_DEP_2) | instskip(NEXT) | instid1(VALU_DEP_2)
	v_fma_f64 v[66:67], v[34:35], v[38:39], -v[66:67]
	v_fma_f64 v[68:69], v[34:35], v[40:41], v[68:69]
	s_delay_alu instid0(VALU_DEP_2) | instskip(NEXT) | instid1(VALU_DEP_2)
	v_add_f64 v[26:27], v[26:27], -v[66:67]
	v_add_f64 v[28:29], v[28:29], -v[68:69]
	s_cbranch_execnz .LBB26_36
.LBB26_35:                              ;   in Loop: Header=BB26_25 Depth=1
	s_delay_alu instid0(VALU_DEP_1) | instskip(NEXT) | instid1(VALU_DEP_3)
	v_mul_f64 v[26:27], s[10:11], v[40:41]
	v_mul_f64 v[28:29], s[10:11], v[38:39]
	s_delay_alu instid0(VALU_DEP_2) | instskip(NEXT) | instid1(VALU_DEP_2)
	v_fma_f64 v[26:27], s[8:9], v[38:39], -v[26:27]
	v_fma_f64 v[28:29], s[8:9], v[40:41], v[28:29]
	s_delay_alu instid0(VALU_DEP_2) | instskip(NEXT) | instid1(VALU_DEP_2)
	v_add_f64 v[26:27], v[6:7], v[26:27]
	v_add_f64 v[28:29], v[8:9], v[28:29]
.LBB26_36:                              ;   in Loop: Header=BB26_25 Depth=1
	v_add_f64 v[6:7], v[2:3], -v[10:11]
	v_add_f64 v[8:9], v[4:5], -v[12:13]
	s_and_not1_b32 vcc_lo, exec_lo, s0
	s_cbranch_vccnz .LBB26_50
; %bb.37:                               ;   in Loop: Header=BB26_25 Depth=1
	s_delay_alu instid0(VALU_DEP_1) | instskip(NEXT) | instid1(VALU_DEP_3)
	v_mul_f64 v[38:39], v[36:37], v[8:9]
	v_mul_f64 v[40:41], v[36:37], v[6:7]
	s_delay_alu instid0(VALU_DEP_2) | instskip(NEXT) | instid1(VALU_DEP_2)
	v_fma_f64 v[38:39], v[34:35], v[6:7], -v[38:39]
	v_fma_f64 v[40:41], v[34:35], v[8:9], v[40:41]
	s_delay_alu instid0(VALU_DEP_2) | instskip(NEXT) | instid1(VALU_DEP_2)
	v_add_f64 v[2:3], v[2:3], -v[38:39]
	v_add_f64 v[4:5], v[4:5], -v[40:41]
	s_cbranch_execnz .LBB26_39
.LBB26_38:                              ;   in Loop: Header=BB26_25 Depth=1
	s_delay_alu instid0(VALU_DEP_1) | instskip(NEXT) | instid1(VALU_DEP_3)
	v_mul_f64 v[2:3], s[10:11], v[8:9]
	v_mul_f64 v[4:5], s[10:11], v[6:7]
	s_delay_alu instid0(VALU_DEP_2) | instskip(NEXT) | instid1(VALU_DEP_2)
	v_fma_f64 v[2:3], s[8:9], v[6:7], -v[2:3]
	v_fma_f64 v[4:5], s[8:9], v[8:9], v[4:5]
	s_delay_alu instid0(VALU_DEP_2) | instskip(NEXT) | instid1(VALU_DEP_2)
	v_add_f64 v[2:3], v[10:11], v[2:3]
	v_add_f64 v[4:5], v[12:13], v[4:5]
.LBB26_39:                              ;   in Loop: Header=BB26_25 Depth=1
	v_add_f64 v[10:11], v[30:31], -v[18:19]
	v_add_f64 v[12:13], v[32:33], -v[20:21]
	s_and_not1_b32 vcc_lo, exec_lo, s0
	s_cbranch_vccnz .LBB26_51
; %bb.40:                               ;   in Loop: Header=BB26_25 Depth=1
	s_delay_alu instid0(VALU_DEP_1) | instskip(NEXT) | instid1(VALU_DEP_3)
	v_mul_f64 v[6:7], v[36:37], v[12:13]
	v_mul_f64 v[8:9], v[36:37], v[10:11]
	s_delay_alu instid0(VALU_DEP_2) | instskip(NEXT) | instid1(VALU_DEP_2)
	v_fma_f64 v[6:7], v[34:35], v[10:11], -v[6:7]
	v_fma_f64 v[8:9], v[34:35], v[12:13], v[8:9]
	s_delay_alu instid0(VALU_DEP_2) | instskip(NEXT) | instid1(VALU_DEP_2)
	v_add_f64 v[6:7], v[30:31], -v[6:7]
	v_add_f64 v[8:9], v[32:33], -v[8:9]
	s_cbranch_execnz .LBB26_42
.LBB26_41:                              ;   in Loop: Header=BB26_25 Depth=1
	s_delay_alu instid0(VALU_DEP_1) | instskip(NEXT) | instid1(VALU_DEP_3)
	v_mul_f64 v[6:7], s[10:11], v[12:13]
	v_mul_f64 v[8:9], s[10:11], v[10:11]
	s_delay_alu instid0(VALU_DEP_2) | instskip(NEXT) | instid1(VALU_DEP_2)
	v_fma_f64 v[6:7], s[8:9], v[10:11], -v[6:7]
	v_fma_f64 v[8:9], s[8:9], v[12:13], v[8:9]
	s_delay_alu instid0(VALU_DEP_2) | instskip(NEXT) | instid1(VALU_DEP_2)
	v_add_f64 v[6:7], v[18:19], v[6:7]
	v_add_f64 v[8:9], v[20:21], v[8:9]
.LBB26_42:                              ;   in Loop: Header=BB26_25 Depth=1
	v_add_f64 v[18:19], v[14:15], -v[22:23]
	v_add_f64 v[20:21], v[16:17], -v[24:25]
	s_and_not1_b32 vcc_lo, exec_lo, s0
	s_cbranch_vccnz .LBB26_52
; %bb.43:                               ;   in Loop: Header=BB26_25 Depth=1
	s_delay_alu instid0(VALU_DEP_1) | instskip(NEXT) | instid1(VALU_DEP_3)
	v_mul_f64 v[10:11], v[36:37], v[20:21]
	v_mul_f64 v[12:13], v[36:37], v[18:19]
	s_delay_alu instid0(VALU_DEP_2) | instskip(NEXT) | instid1(VALU_DEP_2)
	v_fma_f64 v[10:11], v[34:35], v[18:19], -v[10:11]
	v_fma_f64 v[12:13], v[34:35], v[20:21], v[12:13]
	s_delay_alu instid0(VALU_DEP_2) | instskip(NEXT) | instid1(VALU_DEP_2)
	v_add_f64 v[10:11], v[14:15], -v[10:11]
	v_add_f64 v[12:13], v[16:17], -v[12:13]
	s_cbranch_execnz .LBB26_45
.LBB26_44:                              ;   in Loop: Header=BB26_25 Depth=1
	s_delay_alu instid0(VALU_DEP_1) | instskip(NEXT) | instid1(VALU_DEP_3)
	v_mul_f64 v[10:11], s[10:11], v[20:21]
	v_mul_f64 v[12:13], s[10:11], v[18:19]
	s_delay_alu instid0(VALU_DEP_2) | instskip(NEXT) | instid1(VALU_DEP_2)
	v_fma_f64 v[10:11], s[8:9], v[18:19], -v[10:11]
	v_fma_f64 v[12:13], s[8:9], v[20:21], v[12:13]
	s_delay_alu instid0(VALU_DEP_2) | instskip(NEXT) | instid1(VALU_DEP_2)
	v_add_f64 v[10:11], v[22:23], v[10:11]
	v_add_f64 v[12:13], v[24:25], v[12:13]
.LBB26_45:                              ;   in Loop: Header=BB26_25 Depth=1
	s_and_saveexec_b32 s15, s1
	s_delay_alu instid0(SALU_CYCLE_1)
	s_xor_b32 s1, exec_lo, s15
	s_cbranch_execnz .LBB26_53
; %bb.46:                               ;   in Loop: Header=BB26_25 Depth=1
	s_or_b32 exec_lo, exec_lo, s1
	s_and_saveexec_b32 s1, s2
	s_cbranch_execnz .LBB26_54
.LBB26_47:                              ;   in Loop: Header=BB26_25 Depth=1
	s_or_b32 exec_lo, exec_lo, s1
	s_and_saveexec_b32 s1, s3
	s_cbranch_execnz .LBB26_55
.LBB26_48:                              ;   in Loop: Header=BB26_25 Depth=1
	s_or_b32 exec_lo, exec_lo, s1
	s_and_saveexec_b32 s1, s4
	s_cbranch_execz .LBB26_24
	s_branch .LBB26_56
.LBB26_49:                              ;   in Loop: Header=BB26_25 Depth=1
                                        ; implicit-def: $vgpr28_vgpr29
	s_branch .LBB26_35
.LBB26_50:                              ;   in Loop: Header=BB26_25 Depth=1
                                        ; implicit-def: $vgpr4_vgpr5
	s_branch .LBB26_38
.LBB26_51:                              ;   in Loop: Header=BB26_25 Depth=1
                                        ; implicit-def: $vgpr8_vgpr9
	s_branch .LBB26_41
.LBB26_52:                              ;   in Loop: Header=BB26_25 Depth=1
                                        ; implicit-def: $vgpr12_vgpr13
	s_branch .LBB26_44
.LBB26_53:                              ;   in Loop: Header=BB26_25 Depth=1
	v_add_co_u32 v14, vcc_lo, v46, s6
	v_add_co_ci_u32_e32 v15, vcc_lo, s7, v47, vcc_lo
	global_store_b128 v[14:15], v[26:29], off offset:-8
	s_or_b32 exec_lo, exec_lo, s1
	s_and_saveexec_b32 s1, s2
	s_cbranch_execz .LBB26_47
.LBB26_54:                              ;   in Loop: Header=BB26_25 Depth=1
	v_add_co_u32 v14, vcc_lo, v48, s6
	v_add_co_ci_u32_e32 v15, vcc_lo, s7, v49, vcc_lo
	global_store_b128 v[14:15], v[2:5], off
	s_or_b32 exec_lo, exec_lo, s1
	s_and_saveexec_b32 s1, s3
	s_cbranch_execz .LBB26_48
.LBB26_55:                              ;   in Loop: Header=BB26_25 Depth=1
	v_add_co_u32 v2, vcc_lo, v60, s6
	v_add_co_ci_u32_e32 v3, vcc_lo, s7, v61, vcc_lo
	global_store_b128 v[2:3], v[6:9], off
	s_or_b32 exec_lo, exec_lo, s1
	s_and_saveexec_b32 s1, s4
	s_cbranch_execz .LBB26_24
.LBB26_56:                              ;   in Loop: Header=BB26_25 Depth=1
	v_add_co_u32 v2, vcc_lo, v58, s6
	v_add_co_ci_u32_e32 v3, vcc_lo, s7, v59, vcc_lo
	global_store_b128 v[2:3], v[10:13], off offset:-8
	s_branch .LBB26_24
.LBB26_57:
	s_nop 0
	s_sendmsg sendmsg(MSG_DEALLOC_VGPRS)
	s_endpgm
	.section	.rodata,"a",@progbits
	.p2align	6, 0x0
	.amdhsa_kernel _ZN2at6native12_GLOBAL__N_125multi_tensor_apply_kernelINS1_28TensorListScalarListMetadataIN3c107complexIdEELi3EEENS1_26TernaryOpScalarListFunctorIS6_Li3ELi2ELi2EEEJNS0_11LerpFunctorIS6_EEEEEvT_T0_DpT1_
		.amdhsa_group_segment_fixed_size 0
		.amdhsa_private_segment_fixed_size 0
		.amdhsa_kernarg_size 4168
		.amdhsa_user_sgpr_count 15
		.amdhsa_user_sgpr_dispatch_ptr 0
		.amdhsa_user_sgpr_queue_ptr 0
		.amdhsa_user_sgpr_kernarg_segment_ptr 1
		.amdhsa_user_sgpr_dispatch_id 0
		.amdhsa_user_sgpr_private_segment_size 0
		.amdhsa_wavefront_size32 1
		.amdhsa_uses_dynamic_stack 0
		.amdhsa_enable_private_segment 0
		.amdhsa_system_sgpr_workgroup_id_x 1
		.amdhsa_system_sgpr_workgroup_id_y 0
		.amdhsa_system_sgpr_workgroup_id_z 0
		.amdhsa_system_sgpr_workgroup_info 0
		.amdhsa_system_vgpr_workitem_id 0
		.amdhsa_next_free_vgpr 70
		.amdhsa_next_free_sgpr 29
		.amdhsa_reserve_vcc 1
		.amdhsa_float_round_mode_32 0
		.amdhsa_float_round_mode_16_64 0
		.amdhsa_float_denorm_mode_32 3
		.amdhsa_float_denorm_mode_16_64 3
		.amdhsa_dx10_clamp 1
		.amdhsa_ieee_mode 1
		.amdhsa_fp16_overflow 0
		.amdhsa_workgroup_processor_mode 1
		.amdhsa_memory_ordered 1
		.amdhsa_forward_progress 0
		.amdhsa_shared_vgpr_count 0
		.amdhsa_exception_fp_ieee_invalid_op 0
		.amdhsa_exception_fp_denorm_src 0
		.amdhsa_exception_fp_ieee_div_zero 0
		.amdhsa_exception_fp_ieee_overflow 0
		.amdhsa_exception_fp_ieee_underflow 0
		.amdhsa_exception_fp_ieee_inexact 0
		.amdhsa_exception_int_div_zero 0
	.end_amdhsa_kernel
	.section	.text._ZN2at6native12_GLOBAL__N_125multi_tensor_apply_kernelINS1_28TensorListScalarListMetadataIN3c107complexIdEELi3EEENS1_26TernaryOpScalarListFunctorIS6_Li3ELi2ELi2EEEJNS0_11LerpFunctorIS6_EEEEEvT_T0_DpT1_,"axG",@progbits,_ZN2at6native12_GLOBAL__N_125multi_tensor_apply_kernelINS1_28TensorListScalarListMetadataIN3c107complexIdEELi3EEENS1_26TernaryOpScalarListFunctorIS6_Li3ELi2ELi2EEEJNS0_11LerpFunctorIS6_EEEEEvT_T0_DpT1_,comdat
.Lfunc_end26:
	.size	_ZN2at6native12_GLOBAL__N_125multi_tensor_apply_kernelINS1_28TensorListScalarListMetadataIN3c107complexIdEELi3EEENS1_26TernaryOpScalarListFunctorIS6_Li3ELi2ELi2EEEJNS0_11LerpFunctorIS6_EEEEEvT_T0_DpT1_, .Lfunc_end26-_ZN2at6native12_GLOBAL__N_125multi_tensor_apply_kernelINS1_28TensorListScalarListMetadataIN3c107complexIdEELi3EEENS1_26TernaryOpScalarListFunctorIS6_Li3ELi2ELi2EEEJNS0_11LerpFunctorIS6_EEEEEvT_T0_DpT1_
                                        ; -- End function
	.section	.AMDGPU.csdata,"",@progbits
; Kernel info:
; codeLenInByte = 3052
; NumSgprs: 31
; NumVgprs: 70
; ScratchSize: 0
; MemoryBound: 1
; FloatMode: 240
; IeeeMode: 1
; LDSByteSize: 0 bytes/workgroup (compile time only)
; SGPRBlocks: 3
; VGPRBlocks: 8
; NumSGPRsForWavesPerEU: 31
; NumVGPRsForWavesPerEU: 70
; Occupancy: 16
; WaveLimiterHint : 0
; COMPUTE_PGM_RSRC2:SCRATCH_EN: 0
; COMPUTE_PGM_RSRC2:USER_SGPR: 15
; COMPUTE_PGM_RSRC2:TRAP_HANDLER: 0
; COMPUTE_PGM_RSRC2:TGID_X_EN: 1
; COMPUTE_PGM_RSRC2:TGID_Y_EN: 0
; COMPUTE_PGM_RSRC2:TGID_Z_EN: 0
; COMPUTE_PGM_RSRC2:TIDIG_COMP_CNT: 0
	.section	.text._ZN2at6native12_GLOBAL__N_125multi_tensor_apply_kernelINS1_28TensorListScalarListMetadataIN3c107complexIfEELi3EEENS1_26TernaryOpScalarListFunctorIS6_Li3ELi2ELi2EEEJNS0_11LerpFunctorIS6_EEEEEvT_T0_DpT1_,"axG",@progbits,_ZN2at6native12_GLOBAL__N_125multi_tensor_apply_kernelINS1_28TensorListScalarListMetadataIN3c107complexIfEELi3EEENS1_26TernaryOpScalarListFunctorIS6_Li3ELi2ELi2EEEJNS0_11LerpFunctorIS6_EEEEEvT_T0_DpT1_,comdat
	.globl	_ZN2at6native12_GLOBAL__N_125multi_tensor_apply_kernelINS1_28TensorListScalarListMetadataIN3c107complexIfEELi3EEENS1_26TernaryOpScalarListFunctorIS6_Li3ELi2ELi2EEEJNS0_11LerpFunctorIS6_EEEEEvT_T0_DpT1_ ; -- Begin function _ZN2at6native12_GLOBAL__N_125multi_tensor_apply_kernelINS1_28TensorListScalarListMetadataIN3c107complexIfEELi3EEENS1_26TernaryOpScalarListFunctorIS6_Li3ELi2ELi2EEEJNS0_11LerpFunctorIS6_EEEEEvT_T0_DpT1_
	.p2align	8
	.type	_ZN2at6native12_GLOBAL__N_125multi_tensor_apply_kernelINS1_28TensorListScalarListMetadataIN3c107complexIfEELi3EEENS1_26TernaryOpScalarListFunctorIS6_Li3ELi2ELi2EEEJNS0_11LerpFunctorIS6_EEEEEvT_T0_DpT1_,@function
_ZN2at6native12_GLOBAL__N_125multi_tensor_apply_kernelINS1_28TensorListScalarListMetadataIN3c107complexIfEELi3EEENS1_26TernaryOpScalarListFunctorIS6_Li3ELi2ELi2EEEJNS0_11LerpFunctorIS6_EEEEEvT_T0_DpT1_: ; @_ZN2at6native12_GLOBAL__N_125multi_tensor_apply_kernelINS1_28TensorListScalarListMetadataIN3c107complexIfEELi3EEENS1_26TernaryOpScalarListFunctorIS6_Li3ELi2ELi2EEEJNS0_11LerpFunctorIS6_EEEEEvT_T0_DpT1_
; %bb.0:
	v_mov_b32_e32 v1, s15
	s_add_u32 s2, s0, s15
	s_mul_hi_u32 s3, s15, 3
	s_mul_i32 s15, s15, 3
	s_addc_u32 s4, s1, 0
	global_load_u8 v1, v1, s[0:1] offset:1920
	s_add_u32 s2, s2, s15
	s_addc_u32 s3, s4, s3
	s_mov_b32 s25, 0
	s_load_b32 s2, s[2:3], 0x8c0
	s_mov_b32 s27, s25
	s_waitcnt vmcnt(0)
	v_readfirstlane_b32 s5, v1
	s_delay_alu instid0(VALU_DEP_1)
	s_lshl_b32 s3, s5, 3
	s_clause 0x4
	s_load_b64 s[4:5], s[0:1], s3 offset:0x0
	s_load_b64 s[16:17], s[0:1], s3 offset:0x180
	;; [unrolled: 1-line block ×5, first 2 shown]
	s_waitcnt lgkmcnt(0)
	s_ashr_i32 s3, s2, 31
	s_delay_alu instid0(SALU_CYCLE_1) | instskip(NEXT) | instid1(SALU_CYCLE_1)
	s_lshl_b64 s[8:9], s[2:3], 19
	s_add_u32 s12, s4, s8
	s_addc_u32 s13, s5, s9
	s_add_u32 s14, s16, s8
	s_addc_u32 s15, s17, s9
	;; [unrolled: 2-line block ×3, first 2 shown]
	s_or_b32 s10, s20, s14
	s_lshl_b64 s[2:3], s[2:3], 16
	s_and_b32 s10, s10, 31
	s_and_b32 s24, s12, 31
	s_cmp_lg_u32 s10, 0
	s_cselect_b32 s28, -1, 0
	s_sub_u32 s10, s22, s2
	s_subb_u32 s11, s23, s3
	s_and_b32 s26, s22, 3
	s_delay_alu instid0(SALU_CYCLE_1) | instskip(NEXT) | instid1(SALU_CYCLE_1)
	s_or_b64 s[2:3], s[24:25], s[26:27]
	s_cmp_lg_u64 s[2:3], 0
	s_cselect_b32 s2, -1, 0
	s_delay_alu instid0(SALU_CYCLE_1) | instskip(NEXT) | instid1(SALU_CYCLE_1)
	s_or_b32 s2, s28, s2
	s_and_not1_b32 vcc_lo, exec_lo, s2
	s_mov_b32 s2, -1
	s_cbranch_vccz .LBB27_21
; %bb.1:
	v_dual_mov_b32 v18, 0 :: v_dual_lshlrev_b32 v17, 2, v0
	s_mov_b32 s22, exec_lo
	s_delay_alu instid0(VALU_DEP_1)
	v_cmpx_gt_i64_e64 s[10:11], v[17:18]
	s_cbranch_execz .LBB27_20
; %bb.2:
	s_load_b32 s2, s[0:1], 0xdd4
	v_mul_f32_e64 v1, s7, s7
	v_sub_f32_e64 v19, 1.0, s6
	v_sub_f32_e64 v20, 0, s7
	v_lshlrev_b32_e32 v21, 5, v0
	s_mov_b32 s23, 0
	v_fmac_f32_e64 v1, s6, s6
	s_waitcnt lgkmcnt(0)
	s_and_b32 s3, s2, 0xffff
	s_delay_alu instid0(VALU_DEP_1)
	v_cmp_ngt_f32_e64 s2, 0x3e800000, v1
	v_add_lshl_u32 v17, v0, s3, 2
	s_lshl_b32 s24, s3, 2
	s_lshl_b32 s25, s3, 5
	s_branch .LBB27_4
.LBB27_3:                               ;   in Loop: Header=BB27_4 Depth=1
	v_cmp_le_i64_e32 vcc_lo, s[10:11], v[17:18]
	v_cmp_lt_u64_e64 s3, 0xffff, v[17:18]
	v_add_co_u32 v5, s26, s20, v21
	s_delay_alu instid0(VALU_DEP_1)
	v_add_co_ci_u32_e64 v6, null, s21, 0, s26
	s_clause 0x1
	global_store_b128 v[5:6], v[1:4], off
	global_store_b128 v[5:6], v[9:12], off offset:16
	s_or_b32 s3, vcc_lo, s3
	s_add_u32 s12, s12, s25
	s_addc_u32 s13, s13, 0
	s_add_u32 s20, s20, s25
	v_add_co_u32 v17, vcc_lo, v17, s24
	s_addc_u32 s21, s21, 0
	s_add_u32 s14, s14, s25
	v_add_co_ci_u32_e32 v18, vcc_lo, 0, v18, vcc_lo
	s_addc_u32 s15, s15, 0
	s_and_b32 s3, exec_lo, s3
	s_delay_alu instid0(SALU_CYCLE_1) | instskip(NEXT) | instid1(SALU_CYCLE_1)
	s_or_b32 s23, s3, s23
	s_and_not1_b32 exec_lo, exec_lo, s23
	s_cbranch_execz .LBB27_20
.LBB27_4:                               ; =>This Inner Loop Header: Depth=1
	v_add_co_u32 v5, s3, s12, v21
	s_delay_alu instid0(VALU_DEP_1) | instskip(SKIP_1) | instid1(VALU_DEP_1)
	v_add_co_ci_u32_e64 v6, null, s13, 0, s3
	v_add_co_u32 v9, s3, s14, v21
	v_add_co_ci_u32_e64 v10, null, s15, 0, s3
	global_load_b128 v[13:16], v[5:6], off
	global_load_b128 v[1:4], v[9:10], off
	global_load_b128 v[5:8], v[5:6], off offset:16
	global_load_b128 v[9:12], v[9:10], off offset:16
	s_and_b32 vcc_lo, exec_lo, s2
	s_waitcnt vmcnt(2)
	v_dual_sub_f32 v22, v1, v13 :: v_dual_sub_f32 v23, v2, v14
	s_cbranch_vccz .LBB27_6
; %bb.5:                                ;   in Loop: Header=BB27_4 Depth=1
	s_delay_alu instid0(VALU_DEP_1) | instskip(SKIP_1) | instid1(VALU_DEP_2)
	v_mul_f32_e32 v24, v20, v23
	v_mul_f32_e32 v25, v19, v23
	v_fma_f32 v24, v19, v22, -v24
	s_delay_alu instid0(VALU_DEP_2) | instskip(NEXT) | instid1(VALU_DEP_1)
	v_fmac_f32_e32 v25, v20, v22
	v_dual_sub_f32 v1, v1, v24 :: v_dual_sub_f32 v2, v2, v25
	s_cbranch_execz .LBB27_7
	s_branch .LBB27_8
.LBB27_6:                               ;   in Loop: Header=BB27_4 Depth=1
                                        ; implicit-def: $vgpr2
.LBB27_7:                               ;   in Loop: Header=BB27_4 Depth=1
	s_delay_alu instid0(VALU_DEP_1) | instskip(NEXT) | instid1(VALU_DEP_1)
	v_mul_f32_e32 v2, s6, v23
	v_dual_mul_f32 v1, s7, v23 :: v_dual_fmac_f32 v2, s7, v22
	s_delay_alu instid0(VALU_DEP_1) | instskip(NEXT) | instid1(VALU_DEP_1)
	v_fma_f32 v1, v22, s6, -v1
	v_dual_add_f32 v2, v14, v2 :: v_dual_add_f32 v1, v13, v1
.LBB27_8:                               ;   in Loop: Header=BB27_4 Depth=1
	v_dual_sub_f32 v13, v3, v15 :: v_dual_sub_f32 v14, v4, v16
	s_and_not1_b32 vcc_lo, exec_lo, s2
	s_cbranch_vccnz .LBB27_10
; %bb.9:                                ;   in Loop: Header=BB27_4 Depth=1
	s_delay_alu instid0(VALU_DEP_1) | instskip(SKIP_1) | instid1(VALU_DEP_2)
	v_mul_f32_e32 v22, v20, v14
	v_mul_f32_e32 v23, v19, v14
	v_fma_f32 v22, v19, v13, -v22
	s_delay_alu instid0(VALU_DEP_2) | instskip(NEXT) | instid1(VALU_DEP_1)
	v_fmac_f32_e32 v23, v20, v13
	v_dual_sub_f32 v3, v3, v22 :: v_dual_sub_f32 v4, v4, v23
	s_cbranch_execz .LBB27_11
	s_branch .LBB27_12
.LBB27_10:                              ;   in Loop: Header=BB27_4 Depth=1
.LBB27_11:                              ;   in Loop: Header=BB27_4 Depth=1
	s_delay_alu instid0(VALU_DEP_1) | instskip(NEXT) | instid1(VALU_DEP_1)
	v_mul_f32_e32 v4, s6, v14
	v_dual_mul_f32 v3, s7, v14 :: v_dual_fmac_f32 v4, s7, v13
	s_delay_alu instid0(VALU_DEP_1) | instskip(NEXT) | instid1(VALU_DEP_1)
	v_fma_f32 v3, v13, s6, -v3
	v_dual_add_f32 v4, v16, v4 :: v_dual_add_f32 v3, v15, v3
.LBB27_12:                              ;   in Loop: Header=BB27_4 Depth=1
	s_waitcnt vmcnt(0)
	v_dual_sub_f32 v13, v9, v5 :: v_dual_sub_f32 v14, v10, v6
	s_and_not1_b32 vcc_lo, exec_lo, s2
	s_cbranch_vccnz .LBB27_14
; %bb.13:                               ;   in Loop: Header=BB27_4 Depth=1
	s_delay_alu instid0(VALU_DEP_1) | instskip(NEXT) | instid1(VALU_DEP_1)
	v_mul_f32_e32 v16, v19, v14
	v_fmac_f32_e32 v16, v20, v13
	s_delay_alu instid0(VALU_DEP_1) | instskip(NEXT) | instid1(VALU_DEP_1)
	v_dual_mul_f32 v15, v20, v14 :: v_dual_sub_f32 v10, v10, v16
	v_fma_f32 v15, v19, v13, -v15
	s_delay_alu instid0(VALU_DEP_1)
	v_sub_f32_e32 v9, v9, v15
	s_cbranch_execz .LBB27_15
	s_branch .LBB27_16
.LBB27_14:                              ;   in Loop: Header=BB27_4 Depth=1
                                        ; implicit-def: $vgpr10
.LBB27_15:                              ;   in Loop: Header=BB27_4 Depth=1
	s_delay_alu instid0(VALU_DEP_1) | instskip(NEXT) | instid1(VALU_DEP_1)
	v_mul_f32_e32 v10, s6, v14
	v_dual_mul_f32 v9, s7, v14 :: v_dual_fmac_f32 v10, s7, v13
	s_delay_alu instid0(VALU_DEP_1) | instskip(NEXT) | instid1(VALU_DEP_1)
	v_fma_f32 v9, v13, s6, -v9
	v_dual_add_f32 v10, v6, v10 :: v_dual_add_f32 v9, v5, v9
.LBB27_16:                              ;   in Loop: Header=BB27_4 Depth=1
	v_dual_sub_f32 v5, v11, v7 :: v_dual_sub_f32 v6, v12, v8
	s_and_not1_b32 vcc_lo, exec_lo, s2
	s_cbranch_vccnz .LBB27_18
; %bb.17:                               ;   in Loop: Header=BB27_4 Depth=1
	s_delay_alu instid0(VALU_DEP_1) | instskip(SKIP_1) | instid1(VALU_DEP_2)
	v_mul_f32_e32 v13, v20, v6
	v_mul_f32_e32 v14, v19, v6
	v_fma_f32 v13, v19, v5, -v13
	s_delay_alu instid0(VALU_DEP_2) | instskip(NEXT) | instid1(VALU_DEP_1)
	v_fmac_f32_e32 v14, v20, v5
	v_dual_sub_f32 v11, v11, v13 :: v_dual_sub_f32 v12, v12, v14
	s_cbranch_execnz .LBB27_3
	s_branch .LBB27_19
.LBB27_18:                              ;   in Loop: Header=BB27_4 Depth=1
.LBB27_19:                              ;   in Loop: Header=BB27_4 Depth=1
	s_delay_alu instid0(VALU_DEP_1) | instskip(SKIP_1) | instid1(VALU_DEP_1)
	v_mul_f32_e32 v11, s7, v6
	v_mul_f32_e32 v6, s6, v6
	v_fmac_f32_e32 v6, s7, v5
	s_delay_alu instid0(VALU_DEP_3) | instskip(NEXT) | instid1(VALU_DEP_1)
	v_fma_f32 v11, v5, s6, -v11
	v_dual_add_f32 v12, v8, v6 :: v_dual_add_f32 v11, v7, v11
	s_branch .LBB27_3
.LBB27_20:
	s_or_b32 exec_lo, exec_lo, s22
	s_mov_b32 s2, 0
.LBB27_21:
	s_delay_alu instid0(SALU_CYCLE_1)
	s_and_not1_b32 vcc_lo, exec_lo, s2
	s_cbranch_vccnz .LBB27_57
; %bb.22:
	v_cmp_lt_i64_e64 s2, s[10:11], 1
	s_delay_alu instid0(VALU_DEP_1)
	s_and_b32 vcc_lo, exec_lo, s2
	s_cbranch_vccnz .LBB27_57
; %bb.23:
	s_load_b32 s1, s[0:1], 0xdd4
	v_dual_mov_b32 v1, 0 :: v_dual_lshlrev_b32 v6, 3, v0
	v_mul_f32_e64 v4, s7, s7
	v_cmp_gt_u64_e64 s2, 0x10000, s[10:11]
	v_sub_f32_e64 v18, 1.0, s6
	s_delay_alu instid0(VALU_DEP_4)
	v_or_b32_e32 v2, 4, v6
	v_mov_b32_e32 v3, v1
	v_fmac_f32_e64 v4, s6, s6
	v_sub_f32_e64 v19, 0, s7
	s_mov_b32 s13, 0
	v_add_co_u32 v20, s3, s16, v2
	s_delay_alu instid0(VALU_DEP_3)
	v_cmp_ngt_f32_e64 s0, 0x3e800000, v4
	v_add_co_ci_u32_e64 v21, null, s17, 0, s3
	s_waitcnt lgkmcnt(0)
	s_and_b32 s20, s1, 0xffff
	s_and_b32 s1, s2, exec_lo
	v_add_lshl_u32 v7, v0, s20, 3
	v_add_co_u32 v22, s1, s4, v2
	s_delay_alu instid0(VALU_DEP_1) | instskip(NEXT) | instid1(VALU_DEP_3)
	v_add_co_ci_u32_e64 v23, null, s5, 0, s1
	v_add_co_u32 v24, s1, s18, v7
	v_mad_u64_u32 v[4:5], null, s20, 24, v[2:3]
	v_add_co_ci_u32_e64 v25, null, s19, 0, s1
	v_add_co_u32 v26, s1, s18, v2
	s_delay_alu instid0(VALU_DEP_1) | instskip(SKIP_1) | instid1(VALU_DEP_1)
	v_add_co_ci_u32_e64 v27, null, s19, 0, s1
	v_add_co_u32 v28, s1, s4, v7
	v_add_co_ci_u32_e64 v29, null, s5, 0, s1
	v_add_co_u32 v32, s1, s16, v7
	s_cselect_b32 s15, s11, 0
	s_cselect_b32 s14, s10, 0x10000
	v_add_co_u32 v30, vcc_lo, s16, v4
	v_add_co_ci_u32_e64 v33, null, s17, 0, s1
	s_lshl_b32 s1, s20, 4
	v_add_co_ci_u32_e32 v31, vcc_lo, s17, v5, vcc_lo
	v_add_co_u32 v2, s1, s1, v6
	v_add_co_u32 v34, vcc_lo, s4, v4
	v_add_co_ci_u32_e32 v35, vcc_lo, s5, v5, vcc_lo
	v_add_co_u32 v36, vcc_lo, s18, v4
	v_add_co_ci_u32_e64 v3, null, 0, 0, s1
	v_or_b32_e32 v4, 4, v2
	v_add_co_ci_u32_e32 v37, vcc_lo, s19, v5, vcc_lo
	v_add_co_u32 v38, vcc_lo, s18, v2
	s_delay_alu instid0(VALU_DEP_4) | instskip(NEXT) | instid1(VALU_DEP_4)
	v_add_co_ci_u32_e32 v39, vcc_lo, s19, v3, vcc_lo
	v_add_co_u32 v40, vcc_lo, s16, v4
	v_add_co_ci_u32_e32 v41, vcc_lo, s17, v3, vcc_lo
	v_add_co_u32 v42, vcc_lo, s4, v4
	v_add_co_ci_u32_e32 v43, vcc_lo, s5, v3, vcc_lo
	s_lshl_b32 s12, s20, 2
	s_lshl_b32 s21, s20, 1
	s_mul_i32 s22, s20, 3
	s_lshl_b32 s5, s20, 5
	s_mov_b64 s[16:17], s[12:13]
	s_branch .LBB27_25
.LBB27_24:                              ;   in Loop: Header=BB27_25 Depth=1
	s_or_b32 exec_lo, exec_lo, s1
	v_add_co_u32 v0, vcc_lo, v0, s12
	v_add_co_ci_u32_e32 v1, vcc_lo, 0, v1, vcc_lo
	v_add_co_u32 v20, vcc_lo, v20, s5
	v_add_co_ci_u32_e32 v21, vcc_lo, 0, v21, vcc_lo
	;; [unrolled: 2-line block ×11, first 2 shown]
	v_cmp_ge_i64_e64 s1, s[16:17], s[10:11]
	v_cmp_lt_u64_e64 s2, 0xffff, s[16:17]
	v_add_co_u32 v40, vcc_lo, v40, s5
	v_add_co_ci_u32_e32 v41, vcc_lo, 0, v41, vcc_lo
	v_add_co_u32 v42, vcc_lo, v42, s5
	v_add_co_ci_u32_e32 v43, vcc_lo, 0, v43, vcc_lo
	s_or_b32 s1, s1, s2
	s_add_u32 s16, s16, s12
	s_addc_u32 s17, s17, 0
	s_and_b32 vcc_lo, exec_lo, s1
	s_cbranch_vccnz .LBB27_57
.LBB27_25:                              ; =>This Inner Loop Header: Depth=1
	v_cmp_gt_u64_e64 s1, s[14:15], v[0:1]
	v_dual_mov_b32 v11, 0 :: v_dual_mov_b32 v10, 0
	v_dual_mov_b32 v13, 0 :: v_dual_mov_b32 v12, 0
	s_delay_alu instid0(VALU_DEP_3)
	s_and_saveexec_b32 s2, s1
	s_cbranch_execz .LBB27_27
; %bb.26:                               ;   in Loop: Header=BB27_25 Depth=1
	v_add_co_u32 v2, vcc_lo, v22, s8
	v_add_co_ci_u32_e32 v3, vcc_lo, s9, v23, vcc_lo
	v_add_co_u32 v4, vcc_lo, v20, s8
	v_add_co_ci_u32_e32 v5, vcc_lo, s9, v21, vcc_lo
	global_load_b64 v[12:13], v[2:3], off offset:-4
	global_load_b64 v[10:11], v[4:5], off offset:-4
.LBB27_27:                              ;   in Loop: Header=BB27_25 Depth=1
	s_or_b32 exec_lo, exec_lo, s2
	v_add_co_u32 v4, vcc_lo, s20, v0
	v_add_co_ci_u32_e32 v5, vcc_lo, 0, v1, vcc_lo
	v_dual_mov_b32 v3, 0 :: v_dual_mov_b32 v16, 0
	v_dual_mov_b32 v17, 0 :: v_dual_mov_b32 v8, 0
	s_delay_alu instid0(VALU_DEP_3) | instskip(SKIP_1) | instid1(VALU_DEP_2)
	v_cmp_gt_u64_e64 s2, s[14:15], v[4:5]
	v_mov_b32_e32 v9, 0
	s_and_saveexec_b32 s3, s2
	s_cbranch_execz .LBB27_29
; %bb.28:                               ;   in Loop: Header=BB27_25 Depth=1
	v_add_co_u32 v4, vcc_lo, v28, s8
	v_add_co_ci_u32_e32 v5, vcc_lo, s9, v29, vcc_lo
	v_add_co_u32 v6, vcc_lo, v32, s8
	v_add_co_ci_u32_e32 v7, vcc_lo, s9, v33, vcc_lo
	global_load_b64 v[8:9], v[4:5], off
	global_load_b64 v[16:17], v[6:7], off
.LBB27_29:                              ;   in Loop: Header=BB27_25 Depth=1
	s_or_b32 exec_lo, exec_lo, s3
	v_add_co_u32 v4, vcc_lo, s21, v0
	v_add_co_ci_u32_e32 v5, vcc_lo, 0, v1, vcc_lo
	v_dual_mov_b32 v2, 0 :: v_dual_mov_b32 v7, 0
	v_mov_b32_e32 v6, 0
	s_delay_alu instid0(VALU_DEP_3) | instskip(NEXT) | instid1(VALU_DEP_1)
	v_cmp_gt_u64_e64 s3, s[14:15], v[4:5]
	s_and_saveexec_b32 s4, s3
	s_cbranch_execz .LBB27_31
; %bb.30:                               ;   in Loop: Header=BB27_25 Depth=1
	v_add_co_u32 v2, vcc_lo, v42, s8
	v_add_co_ci_u32_e32 v3, vcc_lo, s9, v43, vcc_lo
	v_add_co_u32 v4, vcc_lo, v40, s8
	v_add_co_ci_u32_e32 v5, vcc_lo, s9, v41, vcc_lo
	global_load_b64 v[6:7], v[2:3], off offset:-4
	global_load_b64 v[2:3], v[4:5], off offset:-4
.LBB27_31:                              ;   in Loop: Header=BB27_25 Depth=1
	s_or_b32 exec_lo, exec_lo, s4
	v_add_co_u32 v4, vcc_lo, s22, v0
	v_add_co_ci_u32_e32 v5, vcc_lo, 0, v1, vcc_lo
	v_dual_mov_b32 v15, 0 :: v_dual_mov_b32 v14, 0
	s_delay_alu instid0(VALU_DEP_2) | instskip(SKIP_1) | instid1(VALU_DEP_2)
	v_cmp_gt_u64_e64 s4, s[14:15], v[4:5]
	v_dual_mov_b32 v5, 0 :: v_dual_mov_b32 v4, 0
	s_and_saveexec_b32 s13, s4
	s_cbranch_execz .LBB27_33
; %bb.32:                               ;   in Loop: Header=BB27_25 Depth=1
	v_add_co_u32 v4, vcc_lo, v34, s8
	v_add_co_ci_u32_e32 v5, vcc_lo, s9, v35, vcc_lo
	v_add_co_u32 v14, vcc_lo, v30, s8
	v_add_co_ci_u32_e32 v15, vcc_lo, s9, v31, vcc_lo
	global_load_b64 v[4:5], v[4:5], off offset:-4
	global_load_b64 v[14:15], v[14:15], off offset:-4
.LBB27_33:                              ;   in Loop: Header=BB27_25 Depth=1
	s_or_b32 exec_lo, exec_lo, s13
	s_waitcnt vmcnt(0)
	v_dual_sub_f32 v45, v10, v12 :: v_dual_sub_f32 v44, v11, v13
	s_and_b32 vcc_lo, exec_lo, s0
	s_cbranch_vccz .LBB27_49
; %bb.34:                               ;   in Loop: Header=BB27_25 Depth=1
	s_delay_alu instid0(VALU_DEP_1) | instskip(NEXT) | instid1(VALU_DEP_1)
	v_mul_f32_e32 v46, v19, v44
	v_fma_f32 v46, v18, v45, -v46
	s_delay_alu instid0(VALU_DEP_1) | instskip(NEXT) | instid1(VALU_DEP_1)
	v_dual_mul_f32 v47, v19, v45 :: v_dual_sub_f32 v10, v10, v46
	v_fmac_f32_e32 v47, v18, v44
	s_delay_alu instid0(VALU_DEP_1)
	v_sub_f32_e32 v11, v11, v47
	s_cbranch_execnz .LBB27_36
.LBB27_35:                              ;   in Loop: Header=BB27_25 Depth=1
	s_delay_alu instid0(VALU_DEP_1) | instskip(NEXT) | instid1(VALU_DEP_1)
	v_dual_mul_f32 v10, s7, v44 :: v_dual_mul_f32 v11, s7, v45
	v_fma_f32 v10, v45, s6, -v10
	s_delay_alu instid0(VALU_DEP_1) | instskip(NEXT) | instid1(VALU_DEP_1)
	v_dual_fmac_f32 v11, s6, v44 :: v_dual_add_f32 v10, v12, v10
	v_add_f32_e32 v11, v13, v11
.LBB27_36:                              ;   in Loop: Header=BB27_25 Depth=1
	v_dual_sub_f32 v45, v16, v8 :: v_dual_sub_f32 v44, v17, v9
	s_and_not1_b32 vcc_lo, exec_lo, s0
	s_cbranch_vccnz .LBB27_50
; %bb.37:                               ;   in Loop: Header=BB27_25 Depth=1
	s_delay_alu instid0(VALU_DEP_1) | instskip(NEXT) | instid1(VALU_DEP_1)
	v_mul_f32_e32 v13, v19, v45
	v_fmac_f32_e32 v13, v18, v44
	s_delay_alu instid0(VALU_DEP_1) | instskip(NEXT) | instid1(VALU_DEP_1)
	v_dual_mul_f32 v12, v19, v44 :: v_dual_sub_f32 v13, v17, v13
	v_fma_f32 v12, v18, v45, -v12
	s_delay_alu instid0(VALU_DEP_1)
	v_sub_f32_e32 v12, v16, v12
	s_cbranch_execnz .LBB27_39
.LBB27_38:                              ;   in Loop: Header=BB27_25 Depth=1
	s_delay_alu instid0(VALU_DEP_1) | instskip(NEXT) | instid1(VALU_DEP_1)
	v_dual_mul_f32 v12, s7, v44 :: v_dual_mul_f32 v13, s7, v45
	v_fma_f32 v12, v45, s6, -v12
	s_delay_alu instid0(VALU_DEP_2) | instskip(NEXT) | instid1(VALU_DEP_1)
	v_fmac_f32_e32 v13, s6, v44
	v_dual_add_f32 v12, v8, v12 :: v_dual_add_f32 v13, v9, v13
.LBB27_39:                              ;   in Loop: Header=BB27_25 Depth=1
	v_dual_sub_f32 v9, v2, v6 :: v_dual_sub_f32 v8, v3, v7
	s_and_not1_b32 vcc_lo, exec_lo, s0
	s_cbranch_vccnz .LBB27_51
; %bb.40:                               ;   in Loop: Header=BB27_25 Depth=1
	s_delay_alu instid0(VALU_DEP_1) | instskip(NEXT) | instid1(VALU_DEP_1)
	v_mul_f32_e32 v16, v19, v8
	v_fma_f32 v16, v18, v9, -v16
	s_delay_alu instid0(VALU_DEP_1) | instskip(NEXT) | instid1(VALU_DEP_1)
	v_dual_mul_f32 v17, v19, v9 :: v_dual_sub_f32 v2, v2, v16
	v_fmac_f32_e32 v17, v18, v8
	s_delay_alu instid0(VALU_DEP_1)
	v_sub_f32_e32 v3, v3, v17
	s_cbranch_execnz .LBB27_42
.LBB27_41:                              ;   in Loop: Header=BB27_25 Depth=1
	s_delay_alu instid0(VALU_DEP_1) | instskip(NEXT) | instid1(VALU_DEP_1)
	v_dual_mul_f32 v2, s7, v8 :: v_dual_mul_f32 v3, s7, v9
	v_fma_f32 v2, v9, s6, -v2
	s_delay_alu instid0(VALU_DEP_1) | instskip(NEXT) | instid1(VALU_DEP_1)
	v_dual_fmac_f32 v3, s6, v8 :: v_dual_add_f32 v2, v6, v2
	v_add_f32_e32 v3, v7, v3
.LBB27_42:                              ;   in Loop: Header=BB27_25 Depth=1
	v_dual_sub_f32 v9, v14, v4 :: v_dual_sub_f32 v8, v15, v5
	s_and_not1_b32 vcc_lo, exec_lo, s0
	s_cbranch_vccnz .LBB27_52
; %bb.43:                               ;   in Loop: Header=BB27_25 Depth=1
	s_delay_alu instid0(VALU_DEP_1) | instskip(NEXT) | instid1(VALU_DEP_1)
	v_mul_f32_e32 v6, v19, v8
	v_fma_f32 v6, v18, v9, -v6
	s_delay_alu instid0(VALU_DEP_1) | instskip(NEXT) | instid1(VALU_DEP_1)
	v_dual_mul_f32 v7, v19, v9 :: v_dual_sub_f32 v6, v14, v6
	v_fmac_f32_e32 v7, v18, v8
	s_delay_alu instid0(VALU_DEP_1)
	v_sub_f32_e32 v7, v15, v7
	s_cbranch_execnz .LBB27_45
.LBB27_44:                              ;   in Loop: Header=BB27_25 Depth=1
	s_delay_alu instid0(VALU_DEP_1) | instskip(NEXT) | instid1(VALU_DEP_1)
	v_dual_mul_f32 v6, s7, v8 :: v_dual_mul_f32 v7, s7, v9
	v_fma_f32 v6, v9, s6, -v6
	s_delay_alu instid0(VALU_DEP_1) | instskip(NEXT) | instid1(VALU_DEP_1)
	v_dual_fmac_f32 v7, s6, v8 :: v_dual_add_f32 v6, v4, v6
	v_add_f32_e32 v7, v5, v7
.LBB27_45:                              ;   in Loop: Header=BB27_25 Depth=1
	s_and_saveexec_b32 s13, s1
	s_delay_alu instid0(SALU_CYCLE_1)
	s_xor_b32 s1, exec_lo, s13
	s_cbranch_execnz .LBB27_53
; %bb.46:                               ;   in Loop: Header=BB27_25 Depth=1
	s_or_b32 exec_lo, exec_lo, s1
	s_and_saveexec_b32 s1, s2
	s_cbranch_execnz .LBB27_54
.LBB27_47:                              ;   in Loop: Header=BB27_25 Depth=1
	s_or_b32 exec_lo, exec_lo, s1
	s_and_saveexec_b32 s1, s3
	s_cbranch_execnz .LBB27_55
.LBB27_48:                              ;   in Loop: Header=BB27_25 Depth=1
	s_or_b32 exec_lo, exec_lo, s1
	s_and_saveexec_b32 s1, s4
	s_cbranch_execz .LBB27_24
	s_branch .LBB27_56
.LBB27_49:                              ;   in Loop: Header=BB27_25 Depth=1
                                        ; implicit-def: $vgpr11
	s_branch .LBB27_35
.LBB27_50:                              ;   in Loop: Header=BB27_25 Depth=1
                                        ; implicit-def: $vgpr13
	s_branch .LBB27_38
.LBB27_51:                              ;   in Loop: Header=BB27_25 Depth=1
                                        ; implicit-def: $vgpr3
	s_branch .LBB27_41
.LBB27_52:                              ;   in Loop: Header=BB27_25 Depth=1
                                        ; implicit-def: $vgpr7
	s_branch .LBB27_44
.LBB27_53:                              ;   in Loop: Header=BB27_25 Depth=1
	v_add_co_u32 v4, vcc_lo, v26, s8
	v_add_co_ci_u32_e32 v5, vcc_lo, s9, v27, vcc_lo
	global_store_b64 v[4:5], v[10:11], off offset:-4
	s_or_b32 exec_lo, exec_lo, s1
	s_and_saveexec_b32 s1, s2
	s_cbranch_execz .LBB27_47
.LBB27_54:                              ;   in Loop: Header=BB27_25 Depth=1
	v_add_co_u32 v4, vcc_lo, v24, s8
	v_add_co_ci_u32_e32 v5, vcc_lo, s9, v25, vcc_lo
	global_store_b64 v[4:5], v[12:13], off
	s_or_b32 exec_lo, exec_lo, s1
	s_and_saveexec_b32 s1, s3
	s_cbranch_execz .LBB27_48
.LBB27_55:                              ;   in Loop: Header=BB27_25 Depth=1
	v_add_co_u32 v4, vcc_lo, v38, s8
	v_add_co_ci_u32_e32 v5, vcc_lo, s9, v39, vcc_lo
	global_store_b64 v[4:5], v[2:3], off
	s_or_b32 exec_lo, exec_lo, s1
	s_and_saveexec_b32 s1, s4
	s_cbranch_execz .LBB27_24
.LBB27_56:                              ;   in Loop: Header=BB27_25 Depth=1
	v_add_co_u32 v2, vcc_lo, v36, s8
	v_add_co_ci_u32_e32 v3, vcc_lo, s9, v37, vcc_lo
	global_store_b64 v[2:3], v[6:7], off offset:-4
	s_branch .LBB27_24
.LBB27_57:
	s_nop 0
	s_sendmsg sendmsg(MSG_DEALLOC_VGPRS)
	s_endpgm
	.section	.rodata,"a",@progbits
	.p2align	6, 0x0
	.amdhsa_kernel _ZN2at6native12_GLOBAL__N_125multi_tensor_apply_kernelINS1_28TensorListScalarListMetadataIN3c107complexIfEELi3EEENS1_26TernaryOpScalarListFunctorIS6_Li3ELi2ELi2EEEJNS0_11LerpFunctorIS6_EEEEEvT_T0_DpT1_
		.amdhsa_group_segment_fixed_size 0
		.amdhsa_private_segment_fixed_size 0
		.amdhsa_kernarg_size 3784
		.amdhsa_user_sgpr_count 15
		.amdhsa_user_sgpr_dispatch_ptr 0
		.amdhsa_user_sgpr_queue_ptr 0
		.amdhsa_user_sgpr_kernarg_segment_ptr 1
		.amdhsa_user_sgpr_dispatch_id 0
		.amdhsa_user_sgpr_private_segment_size 0
		.amdhsa_wavefront_size32 1
		.amdhsa_uses_dynamic_stack 0
		.amdhsa_enable_private_segment 0
		.amdhsa_system_sgpr_workgroup_id_x 1
		.amdhsa_system_sgpr_workgroup_id_y 0
		.amdhsa_system_sgpr_workgroup_id_z 0
		.amdhsa_system_sgpr_workgroup_info 0
		.amdhsa_system_vgpr_workitem_id 0
		.amdhsa_next_free_vgpr 48
		.amdhsa_next_free_sgpr 29
		.amdhsa_reserve_vcc 1
		.amdhsa_float_round_mode_32 0
		.amdhsa_float_round_mode_16_64 0
		.amdhsa_float_denorm_mode_32 3
		.amdhsa_float_denorm_mode_16_64 3
		.amdhsa_dx10_clamp 1
		.amdhsa_ieee_mode 1
		.amdhsa_fp16_overflow 0
		.amdhsa_workgroup_processor_mode 1
		.amdhsa_memory_ordered 1
		.amdhsa_forward_progress 0
		.amdhsa_shared_vgpr_count 0
		.amdhsa_exception_fp_ieee_invalid_op 0
		.amdhsa_exception_fp_denorm_src 0
		.amdhsa_exception_fp_ieee_div_zero 0
		.amdhsa_exception_fp_ieee_overflow 0
		.amdhsa_exception_fp_ieee_underflow 0
		.amdhsa_exception_fp_ieee_inexact 0
		.amdhsa_exception_int_div_zero 0
	.end_amdhsa_kernel
	.section	.text._ZN2at6native12_GLOBAL__N_125multi_tensor_apply_kernelINS1_28TensorListScalarListMetadataIN3c107complexIfEELi3EEENS1_26TernaryOpScalarListFunctorIS6_Li3ELi2ELi2EEEJNS0_11LerpFunctorIS6_EEEEEvT_T0_DpT1_,"axG",@progbits,_ZN2at6native12_GLOBAL__N_125multi_tensor_apply_kernelINS1_28TensorListScalarListMetadataIN3c107complexIfEELi3EEENS1_26TernaryOpScalarListFunctorIS6_Li3ELi2ELi2EEEJNS0_11LerpFunctorIS6_EEEEEvT_T0_DpT1_,comdat
.Lfunc_end27:
	.size	_ZN2at6native12_GLOBAL__N_125multi_tensor_apply_kernelINS1_28TensorListScalarListMetadataIN3c107complexIfEELi3EEENS1_26TernaryOpScalarListFunctorIS6_Li3ELi2ELi2EEEJNS0_11LerpFunctorIS6_EEEEEvT_T0_DpT1_, .Lfunc_end27-_ZN2at6native12_GLOBAL__N_125multi_tensor_apply_kernelINS1_28TensorListScalarListMetadataIN3c107complexIfEELi3EEENS1_26TernaryOpScalarListFunctorIS6_Li3ELi2ELi2EEEJNS0_11LerpFunctorIS6_EEEEEvT_T0_DpT1_
                                        ; -- End function
	.section	.AMDGPU.csdata,"",@progbits
; Kernel info:
; codeLenInByte = 2484
; NumSgprs: 31
; NumVgprs: 48
; ScratchSize: 0
; MemoryBound: 1
; FloatMode: 240
; IeeeMode: 1
; LDSByteSize: 0 bytes/workgroup (compile time only)
; SGPRBlocks: 3
; VGPRBlocks: 5
; NumSGPRsForWavesPerEU: 31
; NumVGPRsForWavesPerEU: 48
; Occupancy: 16
; WaveLimiterHint : 1
; COMPUTE_PGM_RSRC2:SCRATCH_EN: 0
; COMPUTE_PGM_RSRC2:USER_SGPR: 15
; COMPUTE_PGM_RSRC2:TRAP_HANDLER: 0
; COMPUTE_PGM_RSRC2:TGID_X_EN: 1
; COMPUTE_PGM_RSRC2:TGID_Y_EN: 0
; COMPUTE_PGM_RSRC2:TGID_Z_EN: 0
; COMPUTE_PGM_RSRC2:TIDIG_COMP_CNT: 0
	.section	.text._ZN2at6native12_GLOBAL__N_125multi_tensor_apply_kernelINS1_28TensorListScalarListMetadataIfLi3EEENS1_26TernaryOpScalarListFunctorIN3c104HalfELi3ELi2ELi2EEEJNS0_11LerpFunctorIfEEEEEvT_T0_DpT1_,"axG",@progbits,_ZN2at6native12_GLOBAL__N_125multi_tensor_apply_kernelINS1_28TensorListScalarListMetadataIfLi3EEENS1_26TernaryOpScalarListFunctorIN3c104HalfELi3ELi2ELi2EEEJNS0_11LerpFunctorIfEEEEEvT_T0_DpT1_,comdat
	.globl	_ZN2at6native12_GLOBAL__N_125multi_tensor_apply_kernelINS1_28TensorListScalarListMetadataIfLi3EEENS1_26TernaryOpScalarListFunctorIN3c104HalfELi3ELi2ELi2EEEJNS0_11LerpFunctorIfEEEEEvT_T0_DpT1_ ; -- Begin function _ZN2at6native12_GLOBAL__N_125multi_tensor_apply_kernelINS1_28TensorListScalarListMetadataIfLi3EEENS1_26TernaryOpScalarListFunctorIN3c104HalfELi3ELi2ELi2EEEJNS0_11LerpFunctorIfEEEEEvT_T0_DpT1_
	.p2align	8
	.type	_ZN2at6native12_GLOBAL__N_125multi_tensor_apply_kernelINS1_28TensorListScalarListMetadataIfLi3EEENS1_26TernaryOpScalarListFunctorIN3c104HalfELi3ELi2ELi2EEEJNS0_11LerpFunctorIfEEEEEvT_T0_DpT1_,@function
_ZN2at6native12_GLOBAL__N_125multi_tensor_apply_kernelINS1_28TensorListScalarListMetadataIfLi3EEENS1_26TernaryOpScalarListFunctorIN3c104HalfELi3ELi2ELi2EEEJNS0_11LerpFunctorIfEEEEEvT_T0_DpT1_: ; @_ZN2at6native12_GLOBAL__N_125multi_tensor_apply_kernelINS1_28TensorListScalarListMetadataIfLi3EEENS1_26TernaryOpScalarListFunctorIN3c104HalfELi3ELi2ELi2EEEJNS0_11LerpFunctorIfEEEEEvT_T0_DpT1_
; %bb.0:
	v_mov_b32_e32 v1, s15
	s_add_u32 s2, s0, s15
	s_mul_i32 s3, s15, 3
	s_mul_hi_u32 s4, s15, 3
	s_addc_u32 s5, s1, 0
	global_load_u8 v1, v1, s[0:1] offset:1728
	s_add_u32 s2, s2, s3
	s_addc_u32 s3, s5, s4
	s_mov_b32 s25, 0
	s_load_b32 s2, s[2:3], 0x800
	s_waitcnt vmcnt(0)
	v_readfirstlane_b32 s3, v1
	v_lshlrev_b32_e32 v1, 2, v1
	s_delay_alu instid0(VALU_DEP_2)
	s_lshl_b32 s6, s3, 3
	s_waitcnt lgkmcnt(0)
	s_ashr_i32 s3, s2, 31
	s_clause 0x3
	s_load_b64 s[12:13], s[0:1], s6 offset:0x0
	s_load_b64 s[14:15], s[0:1], s6 offset:0x180
	;; [unrolled: 1-line block ×4, first 2 shown]
	s_add_u32 s8, s0, s6
	s_addc_u32 s9, s1, 0
	s_lshl_b64 s[6:7], s[2:3], 17
	v_sub_co_u32 v1, s8, s8, v1
	s_delay_alu instid0(VALU_DEP_1) | instskip(NEXT) | instid1(VALU_DEP_2)
	v_sub_co_ci_u32_e64 v2, null, s9, 0, s8
	v_readfirstlane_b32 s22, v1
	s_delay_alu instid0(VALU_DEP_2)
	v_readfirstlane_b32 s23, v2
	s_waitcnt lgkmcnt(0)
	s_add_u32 s10, s12, s6
	s_addc_u32 s11, s13, s7
	s_and_b32 s24, s10, 7
	s_add_u32 s18, s14, s6
	s_addc_u32 s19, s15, s7
	s_add_u32 s20, s16, s6
	s_addc_u32 s21, s17, s7
	s_or_b32 s8, s20, s18
	s_delay_alu instid0(SALU_CYCLE_1) | instskip(NEXT) | instid1(SALU_CYCLE_1)
	s_and_b32 s8, s8, 7
	s_cmp_lg_u32 s8, 0
	s_cselect_b32 s26, -1, 0
	s_lshl_b64 s[2:3], s[2:3], 16
	s_delay_alu instid0(SALU_CYCLE_1) | instskip(SKIP_3) | instid1(SALU_CYCLE_1)
	s_sub_u32 s8, s4, s2
	s_subb_u32 s9, s5, s3
	s_load_b32 s5, s[22:23], 0x600
	s_and_b32 s2, s4, 3
	s_or_b32 s24, s24, s2
	s_delay_alu instid0(SALU_CYCLE_1) | instskip(SKIP_1) | instid1(SALU_CYCLE_1)
	s_cmp_lg_u64 s[24:25], 0
	s_cselect_b32 s2, -1, 0
	s_or_b32 s2, s26, s2
	s_delay_alu instid0(SALU_CYCLE_1)
	s_and_not1_b32 vcc_lo, exec_lo, s2
	s_mov_b32 s2, -1
	s_cbranch_vccz .LBB28_5
; %bb.1:
	v_dual_mov_b32 v2, 0 :: v_dual_lshlrev_b32 v1, 2, v0
	s_mov_b32 s22, exec_lo
	s_delay_alu instid0(VALU_DEP_1)
	v_cmpx_gt_i64_e64 s[8:9], v[1:2]
	s_cbranch_execz .LBB28_4
; %bb.2:
	s_load_b32 s2, s[0:1], 0xd14
	s_waitcnt lgkmcnt(0)
	v_cmp_lt_f32_e64 vcc_lo, |s5|, 0.5
	v_sub_f32_e64 v3, 1.0, s5
	v_lshlrev_b32_e32 v4, 3, v0
	s_mov_b32 s23, 0
	s_and_b32 s2, s2, 0xffff
	s_delay_alu instid0(SALU_CYCLE_1)
	v_add_lshl_u32 v1, v0, s2, 2
	s_lshl_b32 s24, s2, 2
	s_lshl_b32 s25, s2, 3
.LBB28_3:                               ; =>This Inner Loop Header: Depth=1
	v_add_co_u32 v5, s2, s10, v4
	s_delay_alu instid0(VALU_DEP_1) | instskip(SKIP_1) | instid1(VALU_DEP_1)
	v_add_co_ci_u32_e64 v6, null, s11, 0, s2
	v_add_co_u32 v7, s2, s18, v4
	v_add_co_ci_u32_e64 v8, null, s19, 0, s2
	global_load_b64 v[5:6], v[5:6], off
	global_load_b64 v[7:8], v[7:8], off
	v_cmp_le_i64_e64 s2, s[8:9], v[1:2]
	v_cmp_lt_u64_e64 s3, 0xffff, v[1:2]
	v_add_co_u32 v9, s4, s20, v4
	s_delay_alu instid0(VALU_DEP_1) | instskip(SKIP_1) | instid1(VALU_DEP_4)
	v_add_co_ci_u32_e64 v10, null, s21, 0, s4
	v_add_co_u32 v1, s4, v1, s24
	s_or_b32 s2, s2, s3
	s_add_u32 s10, s10, s25
	s_addc_u32 s11, s11, 0
	s_add_u32 s20, s20, s25
	s_addc_u32 s21, s21, 0
	s_add_u32 s18, s18, s25
	v_add_co_ci_u32_e64 v2, s4, 0, v2, s4
	s_addc_u32 s19, s19, 0
	s_and_b32 s2, exec_lo, s2
	s_delay_alu instid0(SALU_CYCLE_1)
	s_or_b32 s23, s2, s23
	s_waitcnt vmcnt(1)
	v_lshrrev_b32_e32 v11, 16, v5
	v_lshrrev_b32_e32 v12, 16, v6
	v_cvt_f32_f16_e32 v13, v5
	s_waitcnt vmcnt(0)
	v_cvt_f32_f16_e32 v14, v7
	v_lshrrev_b32_e32 v15, 16, v7
	v_lshrrev_b32_e32 v16, 16, v8
	v_cvt_f32_f16_e32 v17, v6
	v_cvt_f32_f16_e32 v18, v8
	;; [unrolled: 1-line block ×4, first 2 shown]
	v_sub_f32_e32 v13, v14, v13
	v_cvt_f32_f16_e32 v14, v15
	v_cvt_f32_f16_e32 v15, v16
	v_sub_f32_e32 v16, v18, v17
	s_delay_alu instid0(VALU_DEP_2) | instskip(NEXT) | instid1(VALU_DEP_2)
	v_sub_f32_e32 v12, v15, v12
	v_fma_mix_f32 v15, -v3, v16, v8 op_sel_hi:[0,0,1]
	v_sub_f32_e32 v11, v14, v11
	v_fma_mix_f32 v14, s5, v16, v6 op_sel_hi:[0,0,1]
	v_fma_mix_f32 v17, s5, v13, v5 op_sel_hi:[0,0,1]
	v_fma_mix_f32 v13, -v3, v13, v7 op_sel_hi:[0,0,1]
	v_fma_mix_f32 v6, s5, v12, v6 op_sel:[0,0,1] op_sel_hi:[0,0,1]
	v_fma_mix_f32 v8, -v3, v12, v8 op_sel:[0,0,1] op_sel_hi:[0,0,1]
	v_cndmask_b32_e32 v12, v15, v14, vcc_lo
	v_fma_mix_f32 v5, s5, v11, v5 op_sel:[0,0,1] op_sel_hi:[0,0,1]
	v_fma_mix_f32 v7, -v3, v11, v7 op_sel:[0,0,1] op_sel_hi:[0,0,1]
	s_delay_alu instid0(VALU_DEP_4) | instskip(NEXT) | instid1(VALU_DEP_4)
	v_dual_cndmask_b32 v11, v13, v17 :: v_dual_cndmask_b32 v6, v8, v6
	v_cvt_f16_f32_e32 v8, v12
	s_delay_alu instid0(VALU_DEP_3) | instskip(NEXT) | instid1(VALU_DEP_3)
	v_cndmask_b32_e32 v5, v7, v5, vcc_lo
	v_cvt_f16_f32_e32 v7, v11
	s_delay_alu instid0(VALU_DEP_4) | instskip(NEXT) | instid1(VALU_DEP_3)
	v_cvt_f16_f32_e32 v6, v6
	v_cvt_f16_f32_e32 v5, v5
	s_delay_alu instid0(VALU_DEP_2) | instskip(NEXT) | instid1(VALU_DEP_2)
	v_pack_b32_f16 v6, v8, v6
	v_pack_b32_f16 v5, v7, v5
	global_store_b64 v[9:10], v[5:6], off
	s_and_not1_b32 exec_lo, exec_lo, s23
	s_cbranch_execnz .LBB28_3
.LBB28_4:
	s_or_b32 exec_lo, exec_lo, s22
	s_mov_b32 s2, 0
.LBB28_5:
	s_delay_alu instid0(SALU_CYCLE_1)
	s_and_not1_b32 vcc_lo, exec_lo, s2
	s_cbranch_vccnz .LBB28_25
; %bb.6:
	v_cmp_lt_i64_e64 s2, s[8:9], 1
	s_delay_alu instid0(VALU_DEP_1)
	s_and_b32 vcc_lo, exec_lo, s2
	s_cbranch_vccnz .LBB28_25
; %bb.7:
	s_load_b32 s1, s[0:1], 0xd14
	v_dual_mov_b32 v15, 0 :: v_dual_lshlrev_b32 v14, 1, v0
	v_cmp_gt_u64_e64 s2, 0x10000, s[8:9]
	s_waitcnt lgkmcnt(0)
	v_cmp_lt_f32_e64 s0, |s5|, 0.5
	v_sub_f32_e64 v1, 1.0, s5
	v_add_co_u32 v2, s3, s12, v14
	s_delay_alu instid0(VALU_DEP_1) | instskip(SKIP_1) | instid1(VALU_DEP_1)
	v_add_co_ci_u32_e64 v3, null, s13, 0, s3
	v_add_co_u32 v4, s3, s14, v14
	v_add_co_ci_u32_e64 v5, null, s15, 0, s3
	v_add_co_u32 v6, s3, s16, v14
	s_delay_alu instid0(VALU_DEP_1)
	v_add_co_ci_u32_e64 v7, null, s17, 0, s3
	s_and_b32 s1, s1, 0xffff
	s_and_b32 s2, s2, exec_lo
	v_mad_u64_u32 v[12:13], null, s1, 6, v[14:15]
	s_cselect_b32 s11, s9, 0
	s_cselect_b32 s10, s8, 0x10000
	s_mul_i32 s3, s1, 3
	s_lshl_b32 s18, s1, 2
	s_lshl_b32 s2, s1, 1
	v_add_co_u32 v21, s4, s18, v14
	v_add_co_u32 v14, s3, s3, v0
	v_add_co_u32 v8, vcc_lo, s12, v12
	v_add_co_ci_u32_e64 v15, null, 0, 0, s3
	v_add_co_u32 v20, s3, v0, s1
	v_add_co_ci_u32_e32 v9, vcc_lo, s13, v13, vcc_lo
	v_add_co_u32 v10, vcc_lo, s14, v12
	v_add_co_ci_u32_e32 v11, vcc_lo, s15, v13, vcc_lo
	v_add_co_u32 v12, vcc_lo, s16, v12
	v_add_co_ci_u32_e64 v22, null, 0, 0, s4
	v_lshlrev_b32_e32 v30, 1, v20
	v_add_co_ci_u32_e32 v13, vcc_lo, s17, v13, vcc_lo
	v_add_co_u32 v16, vcc_lo, s12, v21
	v_add_co_u32 v24, s2, s2, v0
	v_add_co_ci_u32_e32 v17, vcc_lo, s13, v22, vcc_lo
	v_add_co_ci_u32_e64 v25, null, 0, 0, s2
	v_add_co_u32 v26, s2, s12, v30
	v_add_co_u32 v18, vcc_lo, s14, v21
	v_add_co_ci_u32_e64 v27, null, s13, 0, s2
	v_add_co_u32 v28, s2, s14, v30
	v_add_co_ci_u32_e32 v19, vcc_lo, s15, v22, vcc_lo
	v_add_co_u32 v21, vcc_lo, s16, v21
	v_add_co_ci_u32_e64 v29, null, s15, 0, s2
	v_add_co_u32 v30, s2, s16, v30
	v_add_co_ci_u32_e32 v22, vcc_lo, s17, v22, vcc_lo
	v_add_co_ci_u32_e64 v23, null, 0, 0, s3
	v_add_co_ci_u32_e64 v31, null, s17, 0, s2
	s_lshl_b32 s14, s1, 3
	s_mov_b64 s[12:13], 0
	s_branch .LBB28_9
.LBB28_8:                               ;   in Loop: Header=BB28_9 Depth=1
	s_or_b32 exec_lo, exec_lo, s1
	v_add_co_u32 v2, vcc_lo, v2, s14
	v_add_co_ci_u32_e32 v3, vcc_lo, 0, v3, vcc_lo
	v_add_co_u32 v4, vcc_lo, v4, s14
	v_add_co_ci_u32_e32 v5, vcc_lo, 0, v5, vcc_lo
	;; [unrolled: 2-line block ×9, first 2 shown]
	s_add_u32 s12, s12, s18
	v_add_co_u32 v26, vcc_lo, v26, s14
	s_addc_u32 s13, s13, 0
	v_add_co_ci_u32_e32 v27, vcc_lo, 0, v27, vcc_lo
	v_cmp_ge_i64_e64 s1, s[12:13], s[8:9]
	v_cmp_lt_u64_e64 s2, 0xffff, s[12:13]
	v_add_co_u32 v28, vcc_lo, v28, s14
	v_add_co_ci_u32_e32 v29, vcc_lo, 0, v29, vcc_lo
	v_add_co_u32 v30, vcc_lo, v30, s14
	v_add_co_ci_u32_e32 v31, vcc_lo, 0, v31, vcc_lo
	s_or_b32 s1, s1, s2
	s_delay_alu instid0(SALU_CYCLE_1)
	s_and_b32 vcc_lo, exec_lo, s1
	s_cbranch_vccnz .LBB28_25
.LBB28_9:                               ; =>This Inner Loop Header: Depth=1
	s_waitcnt vmcnt(1)
	v_add_co_u32 v32, s1, v0, s12
	s_delay_alu instid0(VALU_DEP_1) | instskip(SKIP_2) | instid1(VALU_DEP_2)
	v_add_co_ci_u32_e64 v33, null, 0, s13, s1
	s_waitcnt vmcnt(0)
	v_mov_b32_e32 v34, 0
	v_cmp_gt_u64_e32 vcc_lo, s[10:11], v[32:33]
	v_mov_b32_e32 v33, 0
	s_and_saveexec_b32 s2, vcc_lo
	s_cbranch_execz .LBB28_11
; %bb.10:                               ;   in Loop: Header=BB28_9 Depth=1
	v_add_co_u32 v32, s1, v2, s6
	s_delay_alu instid0(VALU_DEP_1) | instskip(SKIP_1) | instid1(VALU_DEP_1)
	v_add_co_ci_u32_e64 v33, s1, s7, v3, s1
	v_add_co_u32 v34, s1, v4, s6
	v_add_co_ci_u32_e64 v35, s1, s7, v5, s1
	global_load_u16 v33, v[32:33], off
	global_load_u16 v34, v[34:35], off
.LBB28_11:                              ;   in Loop: Header=BB28_9 Depth=1
	s_or_b32 exec_lo, exec_lo, s2
	v_add_co_u32 v35, s1, v20, s12
	s_delay_alu instid0(VALU_DEP_1) | instskip(SKIP_1) | instid1(VALU_DEP_2)
	v_add_co_ci_u32_e64 v36, s1, s13, v23, s1
	v_mov_b32_e32 v32, 0
	v_cmp_gt_u64_e64 s1, s[10:11], v[35:36]
	v_dual_mov_b32 v35, 0 :: v_dual_mov_b32 v36, 0
	s_delay_alu instid0(VALU_DEP_2)
	s_and_saveexec_b32 s3, s1
	s_cbranch_execz .LBB28_13
; %bb.12:                               ;   in Loop: Header=BB28_9 Depth=1
	v_add_co_u32 v35, s2, v26, s6
	s_delay_alu instid0(VALU_DEP_1) | instskip(SKIP_1) | instid1(VALU_DEP_1)
	v_add_co_ci_u32_e64 v36, s2, s7, v27, s2
	v_add_co_u32 v37, s2, v28, s6
	v_add_co_ci_u32_e64 v38, s2, s7, v29, s2
	global_load_u16 v35, v[35:36], off
	global_load_u16 v36, v[37:38], off
.LBB28_13:                              ;   in Loop: Header=BB28_9 Depth=1
	s_or_b32 exec_lo, exec_lo, s3
	v_add_co_u32 v37, s2, v24, s12
	s_delay_alu instid0(VALU_DEP_1) | instskip(NEXT) | instid1(VALU_DEP_1)
	v_add_co_ci_u32_e64 v38, s2, s13, v25, s2
	v_cmp_gt_u64_e64 s2, s[10:11], v[37:38]
	v_mov_b32_e32 v37, 0
	s_delay_alu instid0(VALU_DEP_2)
	s_and_saveexec_b32 s4, s2
	s_cbranch_execz .LBB28_15
; %bb.14:                               ;   in Loop: Header=BB28_9 Depth=1
	v_add_co_u32 v37, s3, v16, s6
	s_delay_alu instid0(VALU_DEP_1) | instskip(SKIP_1) | instid1(VALU_DEP_1)
	v_add_co_ci_u32_e64 v38, s3, s7, v17, s3
	v_add_co_u32 v39, s3, v18, s6
	v_add_co_ci_u32_e64 v40, s3, s7, v19, s3
	global_load_u16 v32, v[37:38], off
	global_load_u16 v37, v[39:40], off
.LBB28_15:                              ;   in Loop: Header=BB28_9 Depth=1
	s_or_b32 exec_lo, exec_lo, s4
	v_add_co_u32 v38, s3, v14, s12
	s_delay_alu instid0(VALU_DEP_1) | instskip(NEXT) | instid1(VALU_DEP_1)
	v_add_co_ci_u32_e64 v39, s3, s13, v15, s3
	v_cmp_gt_u64_e64 s3, s[10:11], v[38:39]
	v_dual_mov_b32 v38, 0 :: v_dual_mov_b32 v39, 0
	s_delay_alu instid0(VALU_DEP_2)
	s_and_saveexec_b32 s15, s3
	s_cbranch_execnz .LBB28_20
; %bb.16:                               ;   in Loop: Header=BB28_9 Depth=1
	s_or_b32 exec_lo, exec_lo, s15
	s_and_saveexec_b32 s4, vcc_lo
	s_cbranch_execnz .LBB28_21
.LBB28_17:                              ;   in Loop: Header=BB28_9 Depth=1
	s_or_b32 exec_lo, exec_lo, s4
	s_and_saveexec_b32 s4, s1
	s_cbranch_execnz .LBB28_22
.LBB28_18:                              ;   in Loop: Header=BB28_9 Depth=1
	s_or_b32 exec_lo, exec_lo, s4
	s_and_saveexec_b32 s1, s2
	s_cbranch_execnz .LBB28_23
.LBB28_19:                              ;   in Loop: Header=BB28_9 Depth=1
	s_or_b32 exec_lo, exec_lo, s1
	s_and_saveexec_b32 s1, s3
	s_cbranch_execz .LBB28_8
	s_branch .LBB28_24
.LBB28_20:                              ;   in Loop: Header=BB28_9 Depth=1
	v_add_co_u32 v38, s4, v8, s6
	s_delay_alu instid0(VALU_DEP_1) | instskip(SKIP_1) | instid1(VALU_DEP_1)
	v_add_co_ci_u32_e64 v39, s4, s7, v9, s4
	v_add_co_u32 v40, s4, v10, s6
	v_add_co_ci_u32_e64 v41, s4, s7, v11, s4
	global_load_u16 v38, v[38:39], off
	global_load_u16 v39, v[40:41], off
	s_or_b32 exec_lo, exec_lo, s15
	s_and_saveexec_b32 s4, vcc_lo
	s_cbranch_execz .LBB28_17
.LBB28_21:                              ;   in Loop: Header=BB28_9 Depth=1
	s_waitcnt vmcnt(0)
	v_cvt_f32_f16_e32 v40, v34
	v_cvt_f32_f16_e32 v41, v33
	s_delay_alu instid0(VALU_DEP_1) | instskip(NEXT) | instid1(VALU_DEP_1)
	v_sub_f32_e32 v40, v40, v41
	v_fma_mix_f32 v33, s5, v40, v33 op_sel_hi:[0,0,1]
	v_fma_mix_f32 v34, -v1, v40, v34 op_sel_hi:[0,0,1]
	s_delay_alu instid0(VALU_DEP_1) | instskip(NEXT) | instid1(VALU_DEP_1)
	v_cndmask_b32_e64 v33, v34, v33, s0
	v_cvt_f16_f32_e32 v40, v33
	v_add_co_u32 v33, vcc_lo, v6, s6
	v_add_co_ci_u32_e32 v34, vcc_lo, s7, v7, vcc_lo
	global_store_b16 v[33:34], v40, off
	s_or_b32 exec_lo, exec_lo, s4
	s_and_saveexec_b32 s4, s1
	s_cbranch_execz .LBB28_18
.LBB28_22:                              ;   in Loop: Header=BB28_9 Depth=1
	s_waitcnt vmcnt(1)
	v_cvt_f32_f16_e32 v33, v35
	s_waitcnt vmcnt(0)
	v_cvt_f32_f16_e32 v34, v36
	s_delay_alu instid0(VALU_DEP_1) | instskip(NEXT) | instid1(VALU_DEP_1)
	v_sub_f32_e32 v33, v34, v33
	v_fma_mix_f32 v34, s5, v33, v35 op_sel_hi:[0,0,1]
	v_fma_mix_f32 v33, -v1, v33, v36 op_sel_hi:[0,0,1]
	s_delay_alu instid0(VALU_DEP_1) | instskip(NEXT) | instid1(VALU_DEP_1)
	v_cndmask_b32_e64 v33, v33, v34, s0
	v_cvt_f16_f32_e32 v35, v33
	v_add_co_u32 v33, vcc_lo, v30, s6
	v_add_co_ci_u32_e32 v34, vcc_lo, s7, v31, vcc_lo
	global_store_b16 v[33:34], v35, off
	s_or_b32 exec_lo, exec_lo, s4
	s_and_saveexec_b32 s1, s2
	s_cbranch_execz .LBB28_19
.LBB28_23:                              ;   in Loop: Header=BB28_9 Depth=1
	s_waitcnt vmcnt(1)
	v_cvt_f32_f16_e32 v33, v32
	s_waitcnt vmcnt(0)
	v_cvt_f32_f16_e32 v34, v37
	s_delay_alu instid0(VALU_DEP_1) | instskip(NEXT) | instid1(VALU_DEP_1)
	v_sub_f32_e32 v33, v34, v33
	v_fma_mix_f32 v32, s5, v33, v32 op_sel_hi:[0,0,1]
	v_fma_mix_f32 v33, -v1, v33, v37 op_sel_hi:[0,0,1]
	s_delay_alu instid0(VALU_DEP_1) | instskip(NEXT) | instid1(VALU_DEP_1)
	v_cndmask_b32_e64 v32, v33, v32, s0
	v_cvt_f16_f32_e32 v34, v32
	v_add_co_u32 v32, vcc_lo, v21, s6
	v_add_co_ci_u32_e32 v33, vcc_lo, s7, v22, vcc_lo
	global_store_b16 v[32:33], v34, off
	s_or_b32 exec_lo, exec_lo, s1
	s_and_saveexec_b32 s1, s3
	s_cbranch_execz .LBB28_8
.LBB28_24:                              ;   in Loop: Header=BB28_9 Depth=1
	s_waitcnt vmcnt(1)
	v_cvt_f32_f16_e32 v32, v38
	s_waitcnt vmcnt(0)
	v_cvt_f32_f16_e32 v33, v39
	s_delay_alu instid0(VALU_DEP_1) | instskip(NEXT) | instid1(VALU_DEP_1)
	v_sub_f32_e32 v32, v33, v32
	v_fma_mix_f32 v33, s5, v32, v38 op_sel_hi:[0,0,1]
	v_fma_mix_f32 v32, -v1, v32, v39 op_sel_hi:[0,0,1]
	s_delay_alu instid0(VALU_DEP_1) | instskip(NEXT) | instid1(VALU_DEP_1)
	v_cndmask_b32_e64 v32, v32, v33, s0
	v_cvt_f16_f32_e32 v34, v32
	v_add_co_u32 v32, vcc_lo, v12, s6
	v_add_co_ci_u32_e32 v33, vcc_lo, s7, v13, vcc_lo
	global_store_b16 v[32:33], v34, off
	s_branch .LBB28_8
.LBB28_25:
	s_nop 0
	s_sendmsg sendmsg(MSG_DEALLOC_VGPRS)
	s_endpgm
	.section	.rodata,"a",@progbits
	.p2align	6, 0x0
	.amdhsa_kernel _ZN2at6native12_GLOBAL__N_125multi_tensor_apply_kernelINS1_28TensorListScalarListMetadataIfLi3EEENS1_26TernaryOpScalarListFunctorIN3c104HalfELi3ELi2ELi2EEEJNS0_11LerpFunctorIfEEEEEvT_T0_DpT1_
		.amdhsa_group_segment_fixed_size 0
		.amdhsa_private_segment_fixed_size 0
		.amdhsa_kernarg_size 3592
		.amdhsa_user_sgpr_count 15
		.amdhsa_user_sgpr_dispatch_ptr 0
		.amdhsa_user_sgpr_queue_ptr 0
		.amdhsa_user_sgpr_kernarg_segment_ptr 1
		.amdhsa_user_sgpr_dispatch_id 0
		.amdhsa_user_sgpr_private_segment_size 0
		.amdhsa_wavefront_size32 1
		.amdhsa_uses_dynamic_stack 0
		.amdhsa_enable_private_segment 0
		.amdhsa_system_sgpr_workgroup_id_x 1
		.amdhsa_system_sgpr_workgroup_id_y 0
		.amdhsa_system_sgpr_workgroup_id_z 0
		.amdhsa_system_sgpr_workgroup_info 0
		.amdhsa_system_vgpr_workitem_id 0
		.amdhsa_next_free_vgpr 42
		.amdhsa_next_free_sgpr 27
		.amdhsa_reserve_vcc 1
		.amdhsa_float_round_mode_32 0
		.amdhsa_float_round_mode_16_64 0
		.amdhsa_float_denorm_mode_32 3
		.amdhsa_float_denorm_mode_16_64 3
		.amdhsa_dx10_clamp 1
		.amdhsa_ieee_mode 1
		.amdhsa_fp16_overflow 0
		.amdhsa_workgroup_processor_mode 1
		.amdhsa_memory_ordered 1
		.amdhsa_forward_progress 0
		.amdhsa_shared_vgpr_count 0
		.amdhsa_exception_fp_ieee_invalid_op 0
		.amdhsa_exception_fp_denorm_src 0
		.amdhsa_exception_fp_ieee_div_zero 0
		.amdhsa_exception_fp_ieee_overflow 0
		.amdhsa_exception_fp_ieee_underflow 0
		.amdhsa_exception_fp_ieee_inexact 0
		.amdhsa_exception_int_div_zero 0
	.end_amdhsa_kernel
	.section	.text._ZN2at6native12_GLOBAL__N_125multi_tensor_apply_kernelINS1_28TensorListScalarListMetadataIfLi3EEENS1_26TernaryOpScalarListFunctorIN3c104HalfELi3ELi2ELi2EEEJNS0_11LerpFunctorIfEEEEEvT_T0_DpT1_,"axG",@progbits,_ZN2at6native12_GLOBAL__N_125multi_tensor_apply_kernelINS1_28TensorListScalarListMetadataIfLi3EEENS1_26TernaryOpScalarListFunctorIN3c104HalfELi3ELi2ELi2EEEJNS0_11LerpFunctorIfEEEEEvT_T0_DpT1_,comdat
.Lfunc_end28:
	.size	_ZN2at6native12_GLOBAL__N_125multi_tensor_apply_kernelINS1_28TensorListScalarListMetadataIfLi3EEENS1_26TernaryOpScalarListFunctorIN3c104HalfELi3ELi2ELi2EEEJNS0_11LerpFunctorIfEEEEEvT_T0_DpT1_, .Lfunc_end28-_ZN2at6native12_GLOBAL__N_125multi_tensor_apply_kernelINS1_28TensorListScalarListMetadataIfLi3EEENS1_26TernaryOpScalarListFunctorIN3c104HalfELi3ELi2ELi2EEEJNS0_11LerpFunctorIfEEEEEvT_T0_DpT1_
                                        ; -- End function
	.section	.AMDGPU.csdata,"",@progbits
; Kernel info:
; codeLenInByte = 2140
; NumSgprs: 29
; NumVgprs: 42
; ScratchSize: 0
; MemoryBound: 0
; FloatMode: 240
; IeeeMode: 1
; LDSByteSize: 0 bytes/workgroup (compile time only)
; SGPRBlocks: 3
; VGPRBlocks: 5
; NumSGPRsForWavesPerEU: 29
; NumVGPRsForWavesPerEU: 42
; Occupancy: 16
; WaveLimiterHint : 0
; COMPUTE_PGM_RSRC2:SCRATCH_EN: 0
; COMPUTE_PGM_RSRC2:USER_SGPR: 15
; COMPUTE_PGM_RSRC2:TRAP_HANDLER: 0
; COMPUTE_PGM_RSRC2:TGID_X_EN: 1
; COMPUTE_PGM_RSRC2:TGID_Y_EN: 0
; COMPUTE_PGM_RSRC2:TGID_Z_EN: 0
; COMPUTE_PGM_RSRC2:TIDIG_COMP_CNT: 0
	.section	.text._ZN2at6native12_GLOBAL__N_125multi_tensor_apply_kernelINS1_28TensorListScalarListMetadataIfLi3EEENS1_26TernaryOpScalarListFunctorIN3c108BFloat16ELi3ELi2ELi2EEEJNS0_11LerpFunctorIfEEEEEvT_T0_DpT1_,"axG",@progbits,_ZN2at6native12_GLOBAL__N_125multi_tensor_apply_kernelINS1_28TensorListScalarListMetadataIfLi3EEENS1_26TernaryOpScalarListFunctorIN3c108BFloat16ELi3ELi2ELi2EEEJNS0_11LerpFunctorIfEEEEEvT_T0_DpT1_,comdat
	.globl	_ZN2at6native12_GLOBAL__N_125multi_tensor_apply_kernelINS1_28TensorListScalarListMetadataIfLi3EEENS1_26TernaryOpScalarListFunctorIN3c108BFloat16ELi3ELi2ELi2EEEJNS0_11LerpFunctorIfEEEEEvT_T0_DpT1_ ; -- Begin function _ZN2at6native12_GLOBAL__N_125multi_tensor_apply_kernelINS1_28TensorListScalarListMetadataIfLi3EEENS1_26TernaryOpScalarListFunctorIN3c108BFloat16ELi3ELi2ELi2EEEJNS0_11LerpFunctorIfEEEEEvT_T0_DpT1_
	.p2align	8
	.type	_ZN2at6native12_GLOBAL__N_125multi_tensor_apply_kernelINS1_28TensorListScalarListMetadataIfLi3EEENS1_26TernaryOpScalarListFunctorIN3c108BFloat16ELi3ELi2ELi2EEEJNS0_11LerpFunctorIfEEEEEvT_T0_DpT1_,@function
_ZN2at6native12_GLOBAL__N_125multi_tensor_apply_kernelINS1_28TensorListScalarListMetadataIfLi3EEENS1_26TernaryOpScalarListFunctorIN3c108BFloat16ELi3ELi2ELi2EEEJNS0_11LerpFunctorIfEEEEEvT_T0_DpT1_: ; @_ZN2at6native12_GLOBAL__N_125multi_tensor_apply_kernelINS1_28TensorListScalarListMetadataIfLi3EEENS1_26TernaryOpScalarListFunctorIN3c108BFloat16ELi3ELi2ELi2EEEJNS0_11LerpFunctorIfEEEEEvT_T0_DpT1_
; %bb.0:
	v_mov_b32_e32 v1, s15
	s_add_u32 s2, s0, s15
	s_mul_i32 s3, s15, 3
	s_mul_hi_u32 s4, s15, 3
	s_addc_u32 s5, s1, 0
	global_load_u8 v1, v1, s[0:1] offset:1728
	s_add_u32 s2, s2, s3
	s_addc_u32 s3, s5, s4
	s_mov_b32 s21, 0
	s_load_b32 s2, s[2:3], 0x800
	s_waitcnt vmcnt(0)
	v_readfirstlane_b32 s3, v1
	v_lshlrev_b32_e32 v1, 2, v1
	s_delay_alu instid0(VALU_DEP_2)
	s_lshl_b32 s6, s3, 3
	s_waitcnt lgkmcnt(0)
	s_ashr_i32 s3, s2, 31
	s_clause 0x3
	s_load_b64 s[14:15], s[0:1], s6 offset:0x180
	s_load_b64 s[12:13], s[0:1], s6 offset:0x300
	;; [unrolled: 1-line block ×4, first 2 shown]
	s_add_u32 s6, s0, s6
	s_addc_u32 s7, s1, 0
	s_lshl_b64 s[8:9], s[2:3], 17
	v_sub_co_u32 v1, s6, s6, v1
	s_delay_alu instid0(VALU_DEP_1) | instskip(NEXT) | instid1(VALU_DEP_2)
	v_sub_co_ci_u32_e64 v2, null, s7, 0, s6
	v_readfirstlane_b32 s6, v1
	s_waitcnt lgkmcnt(0)
	s_add_u32 s10, s14, s8
	s_delay_alu instid0(SALU_CYCLE_1) | instskip(SKIP_2) | instid1(SALU_CYCLE_1)
	s_or_b32 s7, s12, s10
	s_and_b32 s19, s16, 7
	s_and_b32 s7, s7, 7
	s_cmp_lg_u32 s7, 0
	v_readfirstlane_b32 s7, v2
	s_cselect_b32 s22, -1, 0
	s_lshl_b64 s[2:3], s[2:3], 16
	s_delay_alu instid0(SALU_CYCLE_1) | instskip(SKIP_3) | instid1(SALU_CYCLE_1)
	s_sub_u32 s10, s4, s2
	s_load_b32 s18, s[6:7], 0x600
	s_subb_u32 s11, s5, s3
	s_and_b32 s2, s4, 3
	s_or_b32 s20, s19, s2
	s_delay_alu instid0(SALU_CYCLE_1) | instskip(SKIP_1) | instid1(SALU_CYCLE_1)
	s_cmp_lg_u64 s[20:21], 0
	s_cselect_b32 s2, -1, 0
	s_or_b32 s2, s22, s2
	s_delay_alu instid0(SALU_CYCLE_1)
	s_and_not1_b32 vcc_lo, exec_lo, s2
	s_mov_b32 s2, -1
	s_cbranch_vccz .LBB29_5
; %bb.1:
	v_dual_mov_b32 v2, 0 :: v_dual_lshlrev_b32 v1, 2, v0
	s_mov_b32 s7, exec_lo
	s_delay_alu instid0(VALU_DEP_1)
	v_cmpx_gt_i64_e64 s[10:11], v[1:2]
	s_cbranch_execz .LBB29_4
; %bb.2:
	s_load_b32 s2, s[0:1], 0xd14
	v_lshlrev_b32_e32 v1, 3, v0
	s_waitcnt lgkmcnt(0)
	v_cmp_lt_f32_e64 vcc_lo, |s18|, 0.5
	v_sub_f32_e64 v3, 1.0, s18
	s_mov_b32 s19, 0
	v_add_co_u32 v4, s3, s8, v1
	s_delay_alu instid0(VALU_DEP_1) | instskip(SKIP_1) | instid1(SALU_CYCLE_1)
	v_add_co_ci_u32_e64 v5, null, s9, 0, s3
	s_and_b32 s2, s2, 0xffff
	v_add_lshl_u32 v1, v0, s2, 2
	s_lshl_b32 s20, s2, 3
	s_lshl_b32 s21, s2, 2
.LBB29_3:                               ; =>This Inner Loop Header: Depth=1
	v_add_co_u32 v6, s2, s16, v4
	s_delay_alu instid0(VALU_DEP_1) | instskip(SKIP_1) | instid1(VALU_DEP_1)
	v_add_co_ci_u32_e64 v7, s2, s17, v5, s2
	v_add_co_u32 v8, s2, s14, v4
	v_add_co_ci_u32_e64 v9, s2, s15, v5, s2
	v_add_co_u32 v10, s2, s12, v4
	global_load_b64 v[6:7], v[6:7], off
	global_load_b64 v[8:9], v[8:9], off
	v_add_co_ci_u32_e64 v11, s2, s13, v5, s2
	v_cmp_le_i64_e64 s2, s[10:11], v[1:2]
	v_cmp_lt_u64_e64 s3, 0xffff, v[1:2]
	v_add_co_u32 v4, s4, v4, s20
	s_delay_alu instid0(VALU_DEP_1) | instskip(SKIP_1) | instid1(VALU_DEP_4)
	v_add_co_ci_u32_e64 v5, s4, 0, v5, s4
	v_add_co_u32 v1, s4, v1, s21
	s_or_b32 s2, s2, s3
	v_add_co_ci_u32_e64 v2, s4, 0, v2, s4
	s_and_b32 s2, exec_lo, s2
	s_delay_alu instid0(SALU_CYCLE_1)
	s_or_b32 s19, s2, s19
	s_waitcnt vmcnt(1)
	v_lshlrev_b32_e32 v12, 16, v6
	v_and_b32_e32 v14, 0xffff0000, v6
	s_waitcnt vmcnt(0)
	v_and_b32_e32 v15, 0xffff0000, v8
	v_alignbit_b32 v6, v7, v6, 16
	v_and_b32_e32 v7, 0xffff0000, v7
	v_lshlrev_b32_e32 v13, 16, v8
	v_alignbit_b32 v8, v9, v8, 16
	v_and_b32_e32 v9, 0xffff0000, v9
	v_sub_f32_e32 v17, v15, v14
	v_and_b32_e32 v6, 0xffff0000, v6
	s_delay_alu instid0(VALU_DEP_4) | instskip(NEXT) | instid1(VALU_DEP_4)
	v_and_b32_e32 v8, 0xffff0000, v8
	v_sub_f32_e32 v18, v9, v7
	s_delay_alu instid0(VALU_DEP_4) | instskip(SKIP_1) | instid1(VALU_DEP_3)
	v_fmac_f32_e32 v14, s18, v17
	v_fma_f32 v15, -v3, v17, v15
	v_fmac_f32_e32 v7, s18, v18
	v_fma_f32 v9, -v3, v18, v9
	s_delay_alu instid0(VALU_DEP_1) | instskip(SKIP_1) | instid1(VALU_DEP_1)
	v_cndmask_b32_e32 v7, v9, v7, vcc_lo
	v_sub_f32_e32 v16, v13, v12
	v_fmac_f32_e32 v12, s18, v16
	v_fma_f32 v13, -v3, v16, v13
	v_sub_f32_e32 v16, v8, v6
	s_delay_alu instid0(VALU_DEP_2) | instskip(NEXT) | instid1(VALU_DEP_2)
	v_dual_cndmask_b32 v12, v13, v12 :: v_dual_cndmask_b32 v13, v15, v14
	v_fmac_f32_e32 v6, s18, v16
	v_fma_f32 v8, -v3, v16, v8
	s_delay_alu instid0(VALU_DEP_3) | instskip(NEXT) | instid1(VALU_DEP_4)
	v_bfe_u32 v9, v12, 16, 1
	v_bfe_u32 v14, v13, 16, 1
	v_cmp_o_f32_e64 s5, v13, v13
	s_delay_alu instid0(VALU_DEP_4)
	v_cndmask_b32_e32 v6, v8, v6, vcc_lo
	v_bfe_u32 v8, v7, 16, 1
	v_add3_u32 v9, v12, v9, 0x7fff
	v_add3_u32 v14, v13, v14, 0x7fff
	v_cmp_o_f32_e64 s6, v12, v12
	v_bfe_u32 v15, v6, 16, 1
	v_add3_u32 v8, v7, v8, 0x7fff
	v_lshrrev_b32_e32 v9, 16, v9
	v_and_b32_e32 v14, 0xffff0000, v14
	s_delay_alu instid0(VALU_DEP_4) | instskip(NEXT) | instid1(VALU_DEP_4)
	v_add3_u32 v15, v6, v15, 0x7fff
	v_and_b32_e32 v8, 0xffff0000, v8
	s_delay_alu instid0(VALU_DEP_4) | instskip(NEXT) | instid1(VALU_DEP_4)
	v_cndmask_b32_e64 v9, 0x7fc0, v9, s6
	v_cndmask_b32_e64 v13, 0x7fc00000, v14, s5
	v_cmp_o_f32_e64 s5, v7, v7
	v_lshrrev_b32_e32 v12, 16, v15
	s_delay_alu instid0(VALU_DEP_2) | instskip(SKIP_2) | instid1(VALU_DEP_2)
	v_cndmask_b32_e64 v7, 0x7fc00000, v8, s5
	v_cmp_o_f32_e64 s5, v6, v6
	v_or_b32_e32 v8, v9, v13
	v_cndmask_b32_e64 v6, 0x7fc0, v12, s5
	s_delay_alu instid0(VALU_DEP_1) | instskip(NEXT) | instid1(VALU_DEP_3)
	v_or3_b32 v7, 0, v6, v7
	v_or3_b32 v6, v8, 0, 0
	global_store_b64 v[10:11], v[6:7], off
	s_and_not1_b32 exec_lo, exec_lo, s19
	s_cbranch_execnz .LBB29_3
.LBB29_4:
	s_or_b32 exec_lo, exec_lo, s7
	s_mov_b32 s2, 0
.LBB29_5:
	s_delay_alu instid0(SALU_CYCLE_1)
	s_and_not1_b32 vcc_lo, exec_lo, s2
	s_cbranch_vccnz .LBB29_25
; %bb.6:
	v_cmp_lt_i64_e64 s2, s[10:11], 1
	s_delay_alu instid0(VALU_DEP_1)
	s_and_b32 vcc_lo, exec_lo, s2
	s_cbranch_vccnz .LBB29_25
; %bb.7:
	s_load_b32 s1, s[0:1], 0xd14
	v_dual_mov_b32 v2, 0 :: v_dual_lshlrev_b32 v1, 1, v0
	v_cmp_gt_u64_e64 s2, 0x10000, s[10:11]
	s_waitcnt lgkmcnt(0)
	v_cmp_lt_f32_e64 s0, |s18|, 0.5
	v_sub_f32_e64 v3, 1.0, s18
	v_add_co_u32 v4, s3, s16, v1
	s_delay_alu instid0(VALU_DEP_1) | instskip(SKIP_1) | instid1(VALU_DEP_1)
	v_add_co_ci_u32_e64 v5, null, s17, 0, s3
	v_add_co_u32 v6, s3, s14, v1
	v_add_co_ci_u32_e64 v7, null, s15, 0, s3
	v_add_co_u32 v8, s3, s12, v1
	s_delay_alu instid0(VALU_DEP_1)
	v_add_co_ci_u32_e64 v9, null, s13, 0, s3
	s_and_b32 s1, s1, 0xffff
	s_and_b32 s2, s2, exec_lo
	v_mad_u64_u32 v[14:15], null, s1, 6, v[1:2]
	s_cselect_b32 s7, s11, 0
	s_cselect_b32 s6, s10, 0x10000
	s_lshl_b32 s5, s1, 2
	s_mul_i32 s3, s1, 3
	v_add_co_u32 v1, s4, s5, v1
	s_delay_alu instid0(VALU_DEP_2) | instskip(NEXT) | instid1(VALU_DEP_3)
	v_add_co_u32 v10, vcc_lo, s16, v14
	v_add_co_ci_u32_e32 v11, vcc_lo, s17, v15, vcc_lo
	v_add_co_u32 v12, vcc_lo, s14, v14
	v_add_co_ci_u32_e32 v13, vcc_lo, s15, v15, vcc_lo
	v_add_co_u32 v14, vcc_lo, s12, v14
	v_add_co_ci_u32_e64 v2, null, 0, 0, s4
	v_add_co_ci_u32_e32 v15, vcc_lo, s13, v15, vcc_lo
	v_add_co_u32 v16, s3, s3, v0
	v_add_co_u32 v18, vcc_lo, s16, v1
	v_add_co_ci_u32_e64 v17, null, 0, 0, s3
	v_add_co_u32 v22, s3, v0, s1
	v_add_co_ci_u32_e32 v19, vcc_lo, s17, v2, vcc_lo
	v_add_co_u32 v20, vcc_lo, s14, v1
	v_add_co_ci_u32_e32 v21, vcc_lo, s15, v2, vcc_lo
	v_add_co_u32 v23, vcc_lo, s12, v1
	v_lshlrev_b32_e32 v1, 1, v22
	s_lshl_b32 s2, s1, 1
	v_add_co_ci_u32_e32 v24, vcc_lo, s13, v2, vcc_lo
	v_add_co_u32 v26, s2, s2, v0
	s_delay_alu instid0(VALU_DEP_1) | instskip(SKIP_1) | instid1(VALU_DEP_1)
	v_add_co_ci_u32_e64 v27, null, 0, 0, s2
	v_add_co_u32 v28, s2, s16, v1
	v_add_co_ci_u32_e64 v29, null, s17, 0, s2
	v_add_co_u32 v30, s2, s14, v1
	s_delay_alu instid0(VALU_DEP_1)
	v_add_co_ci_u32_e64 v31, null, s15, 0, s2
	v_add_co_u32 v32, s2, s12, v1
	v_add_co_ci_u32_e64 v25, null, 0, 0, s3
	v_add_co_ci_u32_e64 v33, null, s13, 0, s2
	s_mov_b32 s14, 0
	s_lshl_b32 s15, s1, 3
	s_mov_b64 s[12:13], 0
	s_branch .LBB29_9
.LBB29_8:                               ;   in Loop: Header=BB29_9 Depth=1
	s_or_b32 exec_lo, exec_lo, s1
	v_add_co_u32 v4, vcc_lo, v4, s15
	v_add_co_ci_u32_e32 v5, vcc_lo, 0, v5, vcc_lo
	v_add_co_u32 v6, vcc_lo, v6, s15
	v_add_co_ci_u32_e32 v7, vcc_lo, 0, v7, vcc_lo
	;; [unrolled: 2-line block ×9, first 2 shown]
	s_add_u32 s12, s12, s5
	v_add_co_u32 v28, vcc_lo, v28, s15
	s_addc_u32 s13, s13, 0
	v_add_co_ci_u32_e32 v29, vcc_lo, 0, v29, vcc_lo
	v_cmp_ge_i64_e64 s1, s[12:13], s[10:11]
	v_cmp_lt_u64_e64 s2, 0xffff, s[12:13]
	v_add_co_u32 v30, vcc_lo, v30, s15
	v_add_co_ci_u32_e32 v31, vcc_lo, 0, v31, vcc_lo
	v_add_co_u32 v32, vcc_lo, v32, s15
	v_add_co_ci_u32_e32 v33, vcc_lo, 0, v33, vcc_lo
	s_or_b32 s1, s1, s2
	s_delay_alu instid0(SALU_CYCLE_1)
	s_and_b32 vcc_lo, exec_lo, s1
	s_cbranch_vccnz .LBB29_25
.LBB29_9:                               ; =>This Inner Loop Header: Depth=1
	v_add_co_u32 v1, s1, v0, s12
	s_delay_alu instid0(VALU_DEP_1) | instskip(SKIP_2) | instid1(VALU_DEP_2)
	v_add_co_ci_u32_e64 v2, null, 0, s13, s1
	s_waitcnt vmcnt(0)
	v_mov_b32_e32 v35, 0
	v_cmp_gt_u64_e32 vcc_lo, s[6:7], v[1:2]
	v_mov_b32_e32 v1, 0
	v_mov_b32_e32 v2, 0
	s_and_saveexec_b32 s2, vcc_lo
	s_cbranch_execz .LBB29_11
; %bb.10:                               ;   in Loop: Header=BB29_9 Depth=1
	v_add_co_u32 v1, s1, v4, s8
	s_delay_alu instid0(VALU_DEP_1) | instskip(SKIP_2) | instid1(VALU_DEP_1)
	v_add_co_ci_u32_e64 v2, s1, s9, v5, s1
	global_load_u16 v34, v[1:2], off
	v_add_co_u32 v1, s1, v6, s8
	v_add_co_ci_u32_e64 v2, s1, s9, v7, s1
	global_load_u16 v35, v[1:2], off
	s_waitcnt vmcnt(1)
	v_dual_mov_b32 v2, s14 :: v_dual_and_b32 v1, 0xffff, v34
.LBB29_11:                              ;   in Loop: Header=BB29_9 Depth=1
	s_or_b32 exec_lo, exec_lo, s2
	v_add_co_u32 v36, s1, v22, s12
	s_delay_alu instid0(VALU_DEP_1) | instskip(SKIP_1) | instid1(VALU_DEP_2)
	v_add_co_ci_u32_e64 v37, s1, s13, v25, s1
	v_mov_b32_e32 v34, 0
	v_cmp_gt_u64_e64 s1, s[6:7], v[36:37]
	v_mov_b32_e32 v36, 0
	s_delay_alu instid0(VALU_DEP_2)
	s_and_saveexec_b32 s3, s1
	s_cbranch_execz .LBB29_13
; %bb.12:                               ;   in Loop: Header=BB29_9 Depth=1
	v_add_co_u32 v36, s2, v28, s8
	s_delay_alu instid0(VALU_DEP_1) | instskip(SKIP_2) | instid1(VALU_DEP_1)
	v_add_co_ci_u32_e64 v37, s2, s9, v29, s2
	global_load_u16 v38, v[36:37], off
	v_add_co_u32 v36, s2, v30, s8
	v_add_co_ci_u32_e64 v37, s2, s9, v31, s2
	global_load_u16 v36, v[36:37], off
	s_waitcnt vmcnt(1)
	v_lshl_or_b32 v1, v38, 16, v1
.LBB29_13:                              ;   in Loop: Header=BB29_9 Depth=1
	s_or_b32 exec_lo, exec_lo, s3
	v_add_co_u32 v37, s2, v26, s12
	s_delay_alu instid0(VALU_DEP_1) | instskip(NEXT) | instid1(VALU_DEP_1)
	v_add_co_ci_u32_e64 v38, s2, s13, v27, s2
	v_cmp_gt_u64_e64 s2, s[6:7], v[37:38]
	s_delay_alu instid0(VALU_DEP_1)
	s_and_saveexec_b32 s4, s2
	s_cbranch_execz .LBB29_15
; %bb.14:                               ;   in Loop: Header=BB29_9 Depth=1
	v_add_co_u32 v37, s3, v18, s8
	s_delay_alu instid0(VALU_DEP_1) | instskip(SKIP_2) | instid1(VALU_DEP_1)
	v_add_co_ci_u32_e64 v38, s3, s9, v19, s3
	global_load_u16 v39, v[37:38], off
	v_add_co_u32 v37, s3, v20, s8
	v_add_co_ci_u32_e64 v38, s3, s9, v21, s3
	global_load_u16 v34, v[37:38], off
	s_waitcnt vmcnt(1)
	v_or_b32_e32 v2, v39, v2
.LBB29_15:                              ;   in Loop: Header=BB29_9 Depth=1
	s_or_b32 exec_lo, exec_lo, s4
	v_add_co_u32 v37, s3, v16, s12
	s_delay_alu instid0(VALU_DEP_1) | instskip(NEXT) | instid1(VALU_DEP_1)
	v_add_co_ci_u32_e64 v38, s3, s13, v17, s3
	v_cmp_gt_u64_e64 s3, s[6:7], v[37:38]
	v_mov_b32_e32 v37, 0
	s_delay_alu instid0(VALU_DEP_2)
	s_and_saveexec_b32 s16, s3
	s_cbranch_execnz .LBB29_20
; %bb.16:                               ;   in Loop: Header=BB29_9 Depth=1
	s_or_b32 exec_lo, exec_lo, s16
	s_and_saveexec_b32 s4, vcc_lo
	s_cbranch_execnz .LBB29_21
.LBB29_17:                              ;   in Loop: Header=BB29_9 Depth=1
	s_or_b32 exec_lo, exec_lo, s4
	s_and_saveexec_b32 s4, s1
	s_cbranch_execnz .LBB29_22
.LBB29_18:                              ;   in Loop: Header=BB29_9 Depth=1
	s_or_b32 exec_lo, exec_lo, s4
	s_and_saveexec_b32 s1, s2
	s_cbranch_execnz .LBB29_23
.LBB29_19:                              ;   in Loop: Header=BB29_9 Depth=1
	s_or_b32 exec_lo, exec_lo, s1
	s_and_saveexec_b32 s1, s3
	s_cbranch_execz .LBB29_8
	s_branch .LBB29_24
.LBB29_20:                              ;   in Loop: Header=BB29_9 Depth=1
	v_add_co_u32 v37, s4, v10, s8
	s_delay_alu instid0(VALU_DEP_1) | instskip(SKIP_3) | instid1(VALU_DEP_1)
	v_add_co_ci_u32_e64 v38, s4, s9, v11, s4
	v_mov_b32_e32 v39, 0
	global_load_d16_hi_b16 v39, v[37:38], off
	v_add_co_u32 v37, s4, v12, s8
	v_add_co_ci_u32_e64 v38, s4, s9, v13, s4
	global_load_u16 v37, v[37:38], off
	s_waitcnt vmcnt(1)
	v_or_b32_e32 v2, v39, v2
	s_or_b32 exec_lo, exec_lo, s16
	s_and_saveexec_b32 s4, vcc_lo
	s_cbranch_execz .LBB29_17
.LBB29_21:                              ;   in Loop: Header=BB29_9 Depth=1
	s_waitcnt vmcnt(0)
	v_lshlrev_b32_e32 v35, 16, v35
	v_lshlrev_b32_e32 v38, 16, v1
	s_delay_alu instid0(VALU_DEP_1) | instskip(NEXT) | instid1(VALU_DEP_1)
	v_sub_f32_e32 v39, v35, v38
	v_fmac_f32_e32 v38, s18, v39
	v_fma_f32 v35, -v3, v39, v35
	s_delay_alu instid0(VALU_DEP_1) | instskip(NEXT) | instid1(VALU_DEP_1)
	v_cndmask_b32_e64 v35, v35, v38, s0
	v_bfe_u32 v38, v35, 16, 1
	s_delay_alu instid0(VALU_DEP_1) | instskip(NEXT) | instid1(VALU_DEP_1)
	v_add3_u32 v38, v35, v38, 0x7fff
	v_lshrrev_b32_e32 v40, 16, v38
	v_add_co_u32 v38, vcc_lo, v8, s8
	v_add_co_ci_u32_e32 v39, vcc_lo, s9, v9, vcc_lo
	v_cmp_o_f32_e32 vcc_lo, v35, v35
	s_delay_alu instid0(VALU_DEP_4)
	v_cndmask_b32_e32 v35, 0x7fc0, v40, vcc_lo
	global_store_b16 v[38:39], v35, off
	s_or_b32 exec_lo, exec_lo, s4
	s_and_saveexec_b32 s4, s1
	s_cbranch_execz .LBB29_18
.LBB29_22:                              ;   in Loop: Header=BB29_9 Depth=1
	s_waitcnt vmcnt(0)
	v_and_b32_e32 v35, 0xffff0000, v1
	v_lshlrev_b32_e32 v36, 16, v36
	s_delay_alu instid0(VALU_DEP_1) | instskip(NEXT) | instid1(VALU_DEP_1)
	v_sub_f32_e32 v38, v36, v35
	v_fmac_f32_e32 v35, s18, v38
	v_fma_f32 v36, -v3, v38, v36
	s_delay_alu instid0(VALU_DEP_1) | instskip(NEXT) | instid1(VALU_DEP_1)
	v_cndmask_b32_e64 v35, v36, v35, s0
	v_bfe_u32 v36, v35, 16, 1
	v_cmp_o_f32_e32 vcc_lo, v35, v35
	s_delay_alu instid0(VALU_DEP_2) | instskip(NEXT) | instid1(VALU_DEP_1)
	v_add3_u32 v36, v35, v36, 0x7fff
	v_lshrrev_b32_e32 v36, 16, v36
	s_delay_alu instid0(VALU_DEP_1)
	v_cndmask_b32_e32 v38, 0x7fc0, v36, vcc_lo
	v_add_co_u32 v35, vcc_lo, v32, s8
	v_add_co_ci_u32_e32 v36, vcc_lo, s9, v33, vcc_lo
	global_store_b16 v[35:36], v38, off
	s_or_b32 exec_lo, exec_lo, s4
	s_and_saveexec_b32 s1, s2
	s_cbranch_execz .LBB29_19
.LBB29_23:                              ;   in Loop: Header=BB29_9 Depth=1
	v_alignbit_b32 v1, v2, v1, 16
	s_delay_alu instid0(VALU_DEP_1) | instskip(SKIP_2) | instid1(VALU_DEP_1)
	v_and_b32_e32 v1, 0xffff0000, v1
	s_waitcnt vmcnt(0)
	v_lshlrev_b32_e32 v34, 16, v34
	v_sub_f32_e32 v35, v34, v1
	s_delay_alu instid0(VALU_DEP_1) | instskip(SKIP_1) | instid1(VALU_DEP_1)
	v_fmac_f32_e32 v1, s18, v35
	v_fma_f32 v34, -v3, v35, v34
	v_cndmask_b32_e64 v1, v34, v1, s0
	s_delay_alu instid0(VALU_DEP_1) | instskip(SKIP_1) | instid1(VALU_DEP_2)
	v_bfe_u32 v34, v1, 16, 1
	v_cmp_o_f32_e32 vcc_lo, v1, v1
	v_add3_u32 v34, v1, v34, 0x7fff
	s_delay_alu instid0(VALU_DEP_1) | instskip(NEXT) | instid1(VALU_DEP_1)
	v_lshrrev_b32_e32 v34, 16, v34
	v_cndmask_b32_e32 v1, 0x7fc0, v34, vcc_lo
	v_add_co_u32 v34, vcc_lo, v23, s8
	v_add_co_ci_u32_e32 v35, vcc_lo, s9, v24, vcc_lo
	global_store_b16 v[34:35], v1, off
	s_or_b32 exec_lo, exec_lo, s1
	s_and_saveexec_b32 s1, s3
	s_cbranch_execz .LBB29_8
.LBB29_24:                              ;   in Loop: Header=BB29_9 Depth=1
	v_and_b32_e32 v1, 0xffff0000, v2
	s_waitcnt vmcnt(0)
	v_lshlrev_b32_e32 v2, 16, v37
	s_delay_alu instid0(VALU_DEP_1) | instskip(NEXT) | instid1(VALU_DEP_1)
	v_sub_f32_e32 v34, v2, v1
	v_fmac_f32_e32 v1, s18, v34
	v_fma_f32 v2, -v3, v34, v2
	s_delay_alu instid0(VALU_DEP_1) | instskip(NEXT) | instid1(VALU_DEP_1)
	v_cndmask_b32_e64 v1, v2, v1, s0
	v_bfe_u32 v2, v1, 16, 1
	v_cmp_o_f32_e32 vcc_lo, v1, v1
	s_delay_alu instid0(VALU_DEP_2) | instskip(NEXT) | instid1(VALU_DEP_1)
	v_add3_u32 v2, v1, v2, 0x7fff
	v_lshrrev_b32_e32 v2, 16, v2
	s_delay_alu instid0(VALU_DEP_1)
	v_cndmask_b32_e32 v34, 0x7fc0, v2, vcc_lo
	v_add_co_u32 v1, vcc_lo, v14, s8
	v_add_co_ci_u32_e32 v2, vcc_lo, s9, v15, vcc_lo
	global_store_b16 v[1:2], v34, off
	s_branch .LBB29_8
.LBB29_25:
	s_nop 0
	s_sendmsg sendmsg(MSG_DEALLOC_VGPRS)
	s_endpgm
	.section	.rodata,"a",@progbits
	.p2align	6, 0x0
	.amdhsa_kernel _ZN2at6native12_GLOBAL__N_125multi_tensor_apply_kernelINS1_28TensorListScalarListMetadataIfLi3EEENS1_26TernaryOpScalarListFunctorIN3c108BFloat16ELi3ELi2ELi2EEEJNS0_11LerpFunctorIfEEEEEvT_T0_DpT1_
		.amdhsa_group_segment_fixed_size 0
		.amdhsa_private_segment_fixed_size 0
		.amdhsa_kernarg_size 3592
		.amdhsa_user_sgpr_count 15
		.amdhsa_user_sgpr_dispatch_ptr 0
		.amdhsa_user_sgpr_queue_ptr 0
		.amdhsa_user_sgpr_kernarg_segment_ptr 1
		.amdhsa_user_sgpr_dispatch_id 0
		.amdhsa_user_sgpr_private_segment_size 0
		.amdhsa_wavefront_size32 1
		.amdhsa_uses_dynamic_stack 0
		.amdhsa_enable_private_segment 0
		.amdhsa_system_sgpr_workgroup_id_x 1
		.amdhsa_system_sgpr_workgroup_id_y 0
		.amdhsa_system_sgpr_workgroup_id_z 0
		.amdhsa_system_sgpr_workgroup_info 0
		.amdhsa_system_vgpr_workitem_id 0
		.amdhsa_next_free_vgpr 41
		.amdhsa_next_free_sgpr 23
		.amdhsa_reserve_vcc 1
		.amdhsa_float_round_mode_32 0
		.amdhsa_float_round_mode_16_64 0
		.amdhsa_float_denorm_mode_32 3
		.amdhsa_float_denorm_mode_16_64 3
		.amdhsa_dx10_clamp 1
		.amdhsa_ieee_mode 1
		.amdhsa_fp16_overflow 0
		.amdhsa_workgroup_processor_mode 1
		.amdhsa_memory_ordered 1
		.amdhsa_forward_progress 0
		.amdhsa_shared_vgpr_count 0
		.amdhsa_exception_fp_ieee_invalid_op 0
		.amdhsa_exception_fp_denorm_src 0
		.amdhsa_exception_fp_ieee_div_zero 0
		.amdhsa_exception_fp_ieee_overflow 0
		.amdhsa_exception_fp_ieee_underflow 0
		.amdhsa_exception_fp_ieee_inexact 0
		.amdhsa_exception_int_div_zero 0
	.end_amdhsa_kernel
	.section	.text._ZN2at6native12_GLOBAL__N_125multi_tensor_apply_kernelINS1_28TensorListScalarListMetadataIfLi3EEENS1_26TernaryOpScalarListFunctorIN3c108BFloat16ELi3ELi2ELi2EEEJNS0_11LerpFunctorIfEEEEEvT_T0_DpT1_,"axG",@progbits,_ZN2at6native12_GLOBAL__N_125multi_tensor_apply_kernelINS1_28TensorListScalarListMetadataIfLi3EEENS1_26TernaryOpScalarListFunctorIN3c108BFloat16ELi3ELi2ELi2EEEJNS0_11LerpFunctorIfEEEEEvT_T0_DpT1_,comdat
.Lfunc_end29:
	.size	_ZN2at6native12_GLOBAL__N_125multi_tensor_apply_kernelINS1_28TensorListScalarListMetadataIfLi3EEENS1_26TernaryOpScalarListFunctorIN3c108BFloat16ELi3ELi2ELi2EEEJNS0_11LerpFunctorIfEEEEEvT_T0_DpT1_, .Lfunc_end29-_ZN2at6native12_GLOBAL__N_125multi_tensor_apply_kernelINS1_28TensorListScalarListMetadataIfLi3EEENS1_26TernaryOpScalarListFunctorIN3c108BFloat16ELi3ELi2ELi2EEEJNS0_11LerpFunctorIfEEEEEvT_T0_DpT1_
                                        ; -- End function
	.section	.AMDGPU.csdata,"",@progbits
; Kernel info:
; codeLenInByte = 2528
; NumSgprs: 25
; NumVgprs: 41
; ScratchSize: 0
; MemoryBound: 0
; FloatMode: 240
; IeeeMode: 1
; LDSByteSize: 0 bytes/workgroup (compile time only)
; SGPRBlocks: 3
; VGPRBlocks: 5
; NumSGPRsForWavesPerEU: 25
; NumVGPRsForWavesPerEU: 41
; Occupancy: 16
; WaveLimiterHint : 0
; COMPUTE_PGM_RSRC2:SCRATCH_EN: 0
; COMPUTE_PGM_RSRC2:USER_SGPR: 15
; COMPUTE_PGM_RSRC2:TRAP_HANDLER: 0
; COMPUTE_PGM_RSRC2:TGID_X_EN: 1
; COMPUTE_PGM_RSRC2:TGID_Y_EN: 0
; COMPUTE_PGM_RSRC2:TGID_Z_EN: 0
; COMPUTE_PGM_RSRC2:TIDIG_COMP_CNT: 0
	.section	.text._ZN2at6native12_GLOBAL__N_125multi_tensor_apply_kernelINS1_28TensorListScalarListMetadataIdLi2EEENS1_26TernaryOpScalarListFunctorIdLi2ELi2ELi0EEEJNS0_11LerpFunctorIdEEEEEvT_T0_DpT1_,"axG",@progbits,_ZN2at6native12_GLOBAL__N_125multi_tensor_apply_kernelINS1_28TensorListScalarListMetadataIdLi2EEENS1_26TernaryOpScalarListFunctorIdLi2ELi2ELi0EEEJNS0_11LerpFunctorIdEEEEEvT_T0_DpT1_,comdat
	.globl	_ZN2at6native12_GLOBAL__N_125multi_tensor_apply_kernelINS1_28TensorListScalarListMetadataIdLi2EEENS1_26TernaryOpScalarListFunctorIdLi2ELi2ELi0EEEJNS0_11LerpFunctorIdEEEEEvT_T0_DpT1_ ; -- Begin function _ZN2at6native12_GLOBAL__N_125multi_tensor_apply_kernelINS1_28TensorListScalarListMetadataIdLi2EEENS1_26TernaryOpScalarListFunctorIdLi2ELi2ELi0EEEJNS0_11LerpFunctorIdEEEEEvT_T0_DpT1_
	.p2align	8
	.type	_ZN2at6native12_GLOBAL__N_125multi_tensor_apply_kernelINS1_28TensorListScalarListMetadataIdLi2EEENS1_26TernaryOpScalarListFunctorIdLi2ELi2ELi0EEEJNS0_11LerpFunctorIdEEEEEvT_T0_DpT1_,@function
_ZN2at6native12_GLOBAL__N_125multi_tensor_apply_kernelINS1_28TensorListScalarListMetadataIdLi2EEENS1_26TernaryOpScalarListFunctorIdLi2ELi2ELi0EEEJNS0_11LerpFunctorIdEEEEEvT_T0_DpT1_: ; @_ZN2at6native12_GLOBAL__N_125multi_tensor_apply_kernelINS1_28TensorListScalarListMetadataIdLi2EEENS1_26TernaryOpScalarListFunctorIdLi2ELi2ELi0EEEJNS0_11LerpFunctorIdEEEEEvT_T0_DpT1_
; %bb.0:
	v_mov_b32_e32 v1, s15
	s_add_u32 s2, s0, s15
	s_mul_hi_u32 s3, s15, 3
	s_mul_i32 s15, s15, 3
	s_addc_u32 s4, s1, 0
	global_load_u8 v1, v1, s[0:1] offset:2048
	s_add_u32 s2, s2, s15
	s_addc_u32 s3, s4, s3
	s_mov_b32 s21, 0
	s_load_b32 s8, s[2:3], 0x940
	s_mov_b32 s23, s21
	s_mov_b32 s25, s21
	s_waitcnt lgkmcnt(0)
	s_ashr_i32 s9, s8, 31
	s_delay_alu instid0(SALU_CYCLE_1) | instskip(SKIP_2) | instid1(VALU_DEP_1)
	s_lshl_b64 s[6:7], s[8:9], 19
	s_waitcnt vmcnt(0)
	v_readfirstlane_b32 s2, v1
	s_lshl_b32 s2, s2, 3
	s_clause 0x3
	s_load_b64 s[12:13], s[0:1], s2 offset:0x0
	s_load_b64 s[4:5], s[0:1], s2 offset:0x600
	;; [unrolled: 1-line block ×4, first 2 shown]
	s_mov_b32 s2, -1
	s_waitcnt lgkmcnt(0)
	s_add_u32 s3, s12, s6
	s_addc_u32 s10, s13, s7
	s_and_b32 s20, s3, 31
	s_add_u32 s11, s14, s6
	s_addc_u32 s16, s15, s7
	s_and_b32 s22, s18, 3
	s_and_b32 s24, s11, 31
	s_or_b64 s[20:21], s[20:21], s[22:23]
	s_lshl_b64 s[8:9], s[8:9], 16
	s_or_b64 s[20:21], s[24:25], s[20:21]
	s_sub_u32 s8, s18, s8
	s_subb_u32 s9, s19, s9
	s_cmp_eq_u64 s[20:21], 0
	s_cbranch_scc0 .LBB30_21
; %bb.1:
	v_dual_mov_b32 v18, 0 :: v_dual_lshlrev_b32 v17, 2, v0
	s_mov_b32 s17, exec_lo
	s_delay_alu instid0(VALU_DEP_1)
	v_cmpx_gt_i64_e64 s[8:9], v[17:18]
	s_cbranch_execz .LBB30_20
; %bb.2:
	v_add_f64 v[19:20], -s[4:5], 1.0
	v_cmp_nlt_f64_e64 s18, |s[4:5]|, 0.5
	s_load_b32 s2, s[0:1], 0xe54
	v_lshlrev_b32_e32 v25, 5, v0
	s_mov_b32 s19, 0
	s_waitcnt lgkmcnt(0)
	s_and_b32 s2, s2, 0xffff
	s_delay_alu instid0(SALU_CYCLE_1)
	v_add_lshl_u32 v17, v0, s2, 2
	s_lshl_b32 s20, s2, 2
	s_lshl_b32 s21, s2, 5
	s_branch .LBB30_4
.LBB30_3:                               ;   in Loop: Header=BB30_4 Depth=1
	v_cmp_le_i64_e32 vcc_lo, s[8:9], v[17:18]
	v_cmp_lt_u64_e64 s2, 0xffff, v[17:18]
	s_clause 0x1
	global_store_b128 v[21:22], v[1:4], off
	global_store_b128 v[21:22], v[9:12], off offset:16
	s_or_b32 s2, vcc_lo, s2
	s_add_u32 s3, s3, s21
	v_add_co_u32 v17, vcc_lo, v17, s20
	s_addc_u32 s10, s10, 0
	s_add_u32 s11, s11, s21
	v_add_co_ci_u32_e32 v18, vcc_lo, 0, v18, vcc_lo
	s_addc_u32 s16, s16, 0
	s_and_b32 s2, exec_lo, s2
	s_delay_alu instid0(SALU_CYCLE_1) | instskip(NEXT) | instid1(SALU_CYCLE_1)
	s_or_b32 s19, s2, s19
	s_and_not1_b32 exec_lo, exec_lo, s19
	s_cbranch_execz .LBB30_20
.LBB30_4:                               ; =>This Inner Loop Header: Depth=1
	v_add_co_u32 v21, s2, s3, v25
	s_delay_alu instid0(VALU_DEP_1) | instskip(SKIP_1) | instid1(VALU_DEP_1)
	v_add_co_ci_u32_e64 v22, null, s10, 0, s2
	v_add_co_u32 v9, s2, s11, v25
	v_add_co_ci_u32_e64 v10, null, s16, 0, s2
	global_load_b128 v[13:16], v[21:22], off
	global_load_b128 v[1:4], v[9:10], off
	global_load_b128 v[5:8], v[21:22], off offset:16
	global_load_b128 v[9:12], v[9:10], off offset:16
	s_and_b32 vcc_lo, exec_lo, s18
	s_waitcnt vmcnt(2)
	v_add_f64 v[23:24], v[1:2], -v[13:14]
	s_cbranch_vccz .LBB30_6
; %bb.5:                                ;   in Loop: Header=BB30_4 Depth=1
	s_delay_alu instid0(VALU_DEP_1)
	v_fma_f64 v[1:2], -v[19:20], v[23:24], v[1:2]
	s_cbranch_execz .LBB30_7
	s_branch .LBB30_8
.LBB30_6:                               ;   in Loop: Header=BB30_4 Depth=1
                                        ; implicit-def: $vgpr1_vgpr2
.LBB30_7:                               ;   in Loop: Header=BB30_4 Depth=1
	s_delay_alu instid0(VALU_DEP_1)
	v_fma_f64 v[1:2], s[4:5], v[23:24], v[13:14]
.LBB30_8:                               ;   in Loop: Header=BB30_4 Depth=1
	v_add_f64 v[13:14], v[3:4], -v[15:16]
	s_and_not1_b32 vcc_lo, exec_lo, s18
	s_cbranch_vccnz .LBB30_10
; %bb.9:                                ;   in Loop: Header=BB30_4 Depth=1
	s_delay_alu instid0(VALU_DEP_1)
	v_fma_f64 v[3:4], -v[19:20], v[13:14], v[3:4]
	s_cbranch_execz .LBB30_11
	s_branch .LBB30_12
.LBB30_10:                              ;   in Loop: Header=BB30_4 Depth=1
.LBB30_11:                              ;   in Loop: Header=BB30_4 Depth=1
	s_delay_alu instid0(VALU_DEP_1)
	v_fma_f64 v[3:4], s[4:5], v[13:14], v[15:16]
.LBB30_12:                              ;   in Loop: Header=BB30_4 Depth=1
	s_waitcnt vmcnt(0)
	v_add_f64 v[13:14], v[9:10], -v[5:6]
	s_and_not1_b32 vcc_lo, exec_lo, s18
	s_cbranch_vccnz .LBB30_14
; %bb.13:                               ;   in Loop: Header=BB30_4 Depth=1
	s_delay_alu instid0(VALU_DEP_1)
	v_fma_f64 v[9:10], -v[19:20], v[13:14], v[9:10]
	s_cbranch_execz .LBB30_15
	s_branch .LBB30_16
.LBB30_14:                              ;   in Loop: Header=BB30_4 Depth=1
                                        ; implicit-def: $vgpr9_vgpr10
.LBB30_15:                              ;   in Loop: Header=BB30_4 Depth=1
	s_delay_alu instid0(VALU_DEP_1)
	v_fma_f64 v[9:10], s[4:5], v[13:14], v[5:6]
.LBB30_16:                              ;   in Loop: Header=BB30_4 Depth=1
	v_add_f64 v[5:6], v[11:12], -v[7:8]
	s_and_not1_b32 vcc_lo, exec_lo, s18
	s_cbranch_vccnz .LBB30_18
; %bb.17:                               ;   in Loop: Header=BB30_4 Depth=1
	s_delay_alu instid0(VALU_DEP_1)
	v_fma_f64 v[11:12], -v[19:20], v[5:6], v[11:12]
	s_cbranch_execnz .LBB30_3
	s_branch .LBB30_19
.LBB30_18:                              ;   in Loop: Header=BB30_4 Depth=1
.LBB30_19:                              ;   in Loop: Header=BB30_4 Depth=1
	s_delay_alu instid0(VALU_DEP_1)
	v_fma_f64 v[11:12], s[4:5], v[5:6], v[7:8]
	s_branch .LBB30_3
.LBB30_20:
	s_or_b32 exec_lo, exec_lo, s17
	s_mov_b32 s2, 0
.LBB30_21:
	s_delay_alu instid0(SALU_CYCLE_1)
	s_and_not1_b32 vcc_lo, exec_lo, s2
	s_cbranch_vccnz .LBB30_57
; %bb.22:
	v_cmp_lt_i64_e64 s2, s[8:9], 1
	s_delay_alu instid0(VALU_DEP_1)
	s_and_b32 vcc_lo, exec_lo, s2
	s_cbranch_vccnz .LBB30_57
; %bb.23:
	s_load_b32 s0, s[0:1], 0xe54
	v_cmp_nlt_f64_e64 s16, |s[4:5]|, 0.5
	v_add_f64 v[1:2], -s[4:5], 1.0
	v_dual_mov_b32 v4, 0 :: v_dual_lshlrev_b32 v3, 3, v0
	v_cmp_gt_u64_e64 s1, 0x10000, s[8:9]
	s_delay_alu instid0(VALU_DEP_2) | instskip(NEXT) | instid1(VALU_DEP_1)
	v_add_co_u32 v21, s2, s12, v3
	v_add_co_ci_u32_e64 v22, null, s13, 0, s2
	v_add_co_u32 v23, s2, s14, v3
	s_delay_alu instid0(VALU_DEP_1)
	v_add_co_ci_u32_e64 v24, null, s15, 0, s2
	s_waitcnt lgkmcnt(0)
	s_and_b32 s0, s0, 0xffff
	s_and_b32 s1, s1, exec_lo
	v_mad_u64_u32 v[5:6], null, s0, 24, v[3:4]
	s_cselect_b32 s11, s9, 0
	s_cselect_b32 s10, s8, 0x10000
	s_lshl_b32 s3, s0, 4
	s_mul_i32 s2, s0, 3
	v_add_co_u32 v3, s3, s3, v3
	s_delay_alu instid0(VALU_DEP_2) | instskip(NEXT) | instid1(VALU_DEP_3)
	v_add_co_u32 v25, vcc_lo, s12, v5
	v_add_co_ci_u32_e32 v26, vcc_lo, s13, v6, vcc_lo
	v_add_co_u32 v29, s2, s2, v0
	v_add_co_u32 v27, vcc_lo, s14, v5
	v_add_co_ci_u32_e64 v4, null, 0, 0, s3
	v_add_co_ci_u32_e64 v30, null, 0, 0, s2
	v_add_co_u32 v33, s2, v0, s0
	v_add_co_ci_u32_e32 v28, vcc_lo, s15, v6, vcc_lo
	v_add_co_u32 v31, vcc_lo, s12, v3
	v_add_co_ci_u32_e32 v32, vcc_lo, s13, v4, vcc_lo
	v_add_co_u32 v34, vcc_lo, s14, v3
	v_lshlrev_b32_e32 v3, 3, v33
	s_lshl_b32 s1, s0, 1
	v_add_co_ci_u32_e32 v35, vcc_lo, s15, v4, vcc_lo
	v_add_co_u32 v37, s1, s1, v0
	s_delay_alu instid0(VALU_DEP_1) | instskip(SKIP_1) | instid1(VALU_DEP_1)
	v_add_co_ci_u32_e64 v38, null, 0, 0, s1
	v_add_co_u32 v39, s1, s12, v3
	v_add_co_ci_u32_e64 v40, null, s13, 0, s1
	v_add_co_u32 v41, s1, s14, v3
	v_add_co_ci_u32_e64 v36, null, 0, 0, s2
	v_add_co_ci_u32_e64 v42, null, s15, 0, s1
	s_lshl_b32 s14, s0, 2
	s_lshl_b32 s15, s0, 5
	s_mov_b64 s[12:13], 0
	s_branch .LBB30_25
.LBB30_24:                              ;   in Loop: Header=BB30_25 Depth=1
	s_or_b32 exec_lo, exec_lo, s0
	v_add_co_u32 v21, vcc_lo, v21, s15
	v_add_co_ci_u32_e32 v22, vcc_lo, 0, v22, vcc_lo
	v_add_co_u32 v23, vcc_lo, v23, s15
	v_add_co_ci_u32_e32 v24, vcc_lo, 0, v24, vcc_lo
	;; [unrolled: 2-line block ×5, first 2 shown]
	s_add_u32 s12, s12, s14
	v_add_co_u32 v34, vcc_lo, v34, s15
	s_addc_u32 s13, s13, 0
	v_add_co_ci_u32_e32 v35, vcc_lo, 0, v35, vcc_lo
	v_cmp_ge_i64_e64 s0, s[12:13], s[8:9]
	v_cmp_lt_u64_e64 s1, 0xffff, s[12:13]
	v_add_co_u32 v39, vcc_lo, v39, s15
	v_add_co_ci_u32_e32 v40, vcc_lo, 0, v40, vcc_lo
	v_add_co_u32 v41, vcc_lo, v41, s15
	v_add_co_ci_u32_e32 v42, vcc_lo, 0, v42, vcc_lo
	s_or_b32 s0, s0, s1
	s_delay_alu instid0(SALU_CYCLE_1)
	s_and_b32 vcc_lo, exec_lo, s0
	s_cbranch_vccnz .LBB30_57
.LBB30_25:                              ; =>This Inner Loop Header: Depth=1
	v_add_co_u32 v5, s0, v0, s12
	s_delay_alu instid0(VALU_DEP_1) | instskip(SKIP_2) | instid1(VALU_DEP_3)
	v_add_co_ci_u32_e64 v6, null, 0, s13, s0
	v_mov_b32_e32 v3, 0
	v_mov_b32_e32 v4, 0
	v_cmp_gt_u64_e64 s0, s[10:11], v[5:6]
	s_delay_alu instid0(VALU_DEP_2) | instskip(SKIP_1) | instid1(VALU_DEP_3)
	v_dual_mov_b32 v8, v4 :: v_dual_mov_b32 v7, v3
	v_dual_mov_b32 v12, v4 :: v_dual_mov_b32 v11, v3
	s_and_saveexec_b32 s1, s0
	s_cbranch_execz .LBB30_27
; %bb.26:                               ;   in Loop: Header=BB30_25 Depth=1
	v_add_co_u32 v5, vcc_lo, v21, s6
	v_add_co_ci_u32_e32 v6, vcc_lo, s7, v22, vcc_lo
	v_add_co_u32 v9, vcc_lo, v23, s6
	v_add_co_ci_u32_e32 v10, vcc_lo, s7, v24, vcc_lo
	global_load_b64 v[7:8], v[5:6], off
	global_load_b64 v[11:12], v[9:10], off
.LBB30_27:                              ;   in Loop: Header=BB30_25 Depth=1
	s_or_b32 exec_lo, exec_lo, s1
	v_add_co_u32 v5, vcc_lo, v33, s12
	v_add_co_ci_u32_e32 v6, vcc_lo, s13, v36, vcc_lo
	v_dual_mov_b32 v14, v4 :: v_dual_mov_b32 v13, v3
	s_delay_alu instid0(VALU_DEP_2) | instskip(NEXT) | instid1(VALU_DEP_1)
	v_cmp_gt_u64_e64 s1, s[10:11], v[5:6]
	s_and_saveexec_b32 s2, s1
	s_cbranch_execz .LBB30_29
; %bb.28:                               ;   in Loop: Header=BB30_25 Depth=1
	v_add_co_u32 v3, vcc_lo, v39, s6
	v_add_co_ci_u32_e32 v4, vcc_lo, s7, v40, vcc_lo
	v_add_co_u32 v5, vcc_lo, v41, s6
	v_add_co_ci_u32_e32 v6, vcc_lo, s7, v42, vcc_lo
	global_load_b64 v[3:4], v[3:4], off
	global_load_b64 v[13:14], v[5:6], off
.LBB30_29:                              ;   in Loop: Header=BB30_25 Depth=1
	s_or_b32 exec_lo, exec_lo, s2
	v_add_co_u32 v9, vcc_lo, v37, s12
	v_add_co_ci_u32_e32 v10, vcc_lo, s13, v38, vcc_lo
	v_mov_b32_e32 v5, 0
	v_mov_b32_e32 v6, 0
	s_delay_alu instid0(VALU_DEP_3) | instskip(NEXT) | instid1(VALU_DEP_2)
	v_cmp_gt_u64_e64 s2, s[10:11], v[9:10]
	v_dual_mov_b32 v10, v6 :: v_dual_mov_b32 v9, v5
	v_dual_mov_b32 v16, v6 :: v_dual_mov_b32 v15, v5
	s_delay_alu instid0(VALU_DEP_3)
	s_and_saveexec_b32 s3, s2
	s_cbranch_execz .LBB30_31
; %bb.30:                               ;   in Loop: Header=BB30_25 Depth=1
	v_add_co_u32 v9, vcc_lo, v31, s6
	v_add_co_ci_u32_e32 v10, vcc_lo, s7, v32, vcc_lo
	v_add_co_u32 v15, vcc_lo, v34, s6
	v_add_co_ci_u32_e32 v16, vcc_lo, s7, v35, vcc_lo
	global_load_b64 v[9:10], v[9:10], off
	global_load_b64 v[15:16], v[15:16], off
.LBB30_31:                              ;   in Loop: Header=BB30_25 Depth=1
	s_or_b32 exec_lo, exec_lo, s3
	v_add_co_u32 v17, vcc_lo, v29, s12
	v_add_co_ci_u32_e32 v18, vcc_lo, s13, v30, vcc_lo
	s_delay_alu instid0(VALU_DEP_1) | instskip(SKIP_1) | instid1(VALU_DEP_2)
	v_cmp_gt_u64_e64 s3, s[10:11], v[17:18]
	v_dual_mov_b32 v18, v6 :: v_dual_mov_b32 v17, v5
	s_and_saveexec_b32 s17, s3
	s_cbranch_execz .LBB30_33
; %bb.32:                               ;   in Loop: Header=BB30_25 Depth=1
	v_add_co_u32 v5, vcc_lo, v25, s6
	v_add_co_ci_u32_e32 v6, vcc_lo, s7, v26, vcc_lo
	v_add_co_u32 v17, vcc_lo, v27, s6
	v_add_co_ci_u32_e32 v18, vcc_lo, s7, v28, vcc_lo
	global_load_b64 v[5:6], v[5:6], off
	global_load_b64 v[17:18], v[17:18], off
.LBB30_33:                              ;   in Loop: Header=BB30_25 Depth=1
	s_or_b32 exec_lo, exec_lo, s17
	s_waitcnt vmcnt(0)
	v_add_f64 v[19:20], v[11:12], -v[7:8]
	s_and_b32 vcc_lo, exec_lo, s16
	s_cbranch_vccz .LBB30_49
; %bb.34:                               ;   in Loop: Header=BB30_25 Depth=1
	s_delay_alu instid0(VALU_DEP_1)
	v_fma_f64 v[11:12], -v[1:2], v[19:20], v[11:12]
	s_cbranch_execnz .LBB30_36
.LBB30_35:                              ;   in Loop: Header=BB30_25 Depth=1
	s_delay_alu instid0(VALU_DEP_1)
	v_fma_f64 v[11:12], s[4:5], v[19:20], v[7:8]
.LBB30_36:                              ;   in Loop: Header=BB30_25 Depth=1
	v_add_f64 v[19:20], v[13:14], -v[3:4]
	s_and_not1_b32 vcc_lo, exec_lo, s16
	s_cbranch_vccnz .LBB30_50
; %bb.37:                               ;   in Loop: Header=BB30_25 Depth=1
	s_delay_alu instid0(VALU_DEP_1)
	v_fma_f64 v[7:8], -v[1:2], v[19:20], v[13:14]
	s_cbranch_execnz .LBB30_39
.LBB30_38:                              ;   in Loop: Header=BB30_25 Depth=1
	s_delay_alu instid0(VALU_DEP_1)
	v_fma_f64 v[7:8], s[4:5], v[19:20], v[3:4]
.LBB30_39:                              ;   in Loop: Header=BB30_25 Depth=1
	v_add_f64 v[13:14], v[15:16], -v[9:10]
	s_and_not1_b32 vcc_lo, exec_lo, s16
	s_cbranch_vccnz .LBB30_51
; %bb.40:                               ;   in Loop: Header=BB30_25 Depth=1
	s_delay_alu instid0(VALU_DEP_1)
	v_fma_f64 v[3:4], -v[1:2], v[13:14], v[15:16]
	s_cbranch_execnz .LBB30_42
.LBB30_41:                              ;   in Loop: Header=BB30_25 Depth=1
	s_delay_alu instid0(VALU_DEP_1)
	v_fma_f64 v[3:4], s[4:5], v[13:14], v[9:10]
.LBB30_42:                              ;   in Loop: Header=BB30_25 Depth=1
	v_add_f64 v[13:14], v[17:18], -v[5:6]
	s_and_not1_b32 vcc_lo, exec_lo, s16
	s_cbranch_vccnz .LBB30_52
; %bb.43:                               ;   in Loop: Header=BB30_25 Depth=1
	s_delay_alu instid0(VALU_DEP_1)
	v_fma_f64 v[9:10], -v[1:2], v[13:14], v[17:18]
	s_cbranch_execnz .LBB30_45
.LBB30_44:                              ;   in Loop: Header=BB30_25 Depth=1
	s_delay_alu instid0(VALU_DEP_1)
	v_fma_f64 v[9:10], s[4:5], v[13:14], v[5:6]
.LBB30_45:                              ;   in Loop: Header=BB30_25 Depth=1
	s_and_saveexec_b32 s17, s0
	s_delay_alu instid0(SALU_CYCLE_1)
	s_xor_b32 s0, exec_lo, s17
	s_cbranch_execnz .LBB30_53
; %bb.46:                               ;   in Loop: Header=BB30_25 Depth=1
	s_or_b32 exec_lo, exec_lo, s0
	s_and_saveexec_b32 s0, s1
	s_cbranch_execnz .LBB30_54
.LBB30_47:                              ;   in Loop: Header=BB30_25 Depth=1
	s_or_b32 exec_lo, exec_lo, s0
	s_and_saveexec_b32 s0, s2
	s_cbranch_execnz .LBB30_55
.LBB30_48:                              ;   in Loop: Header=BB30_25 Depth=1
	s_or_b32 exec_lo, exec_lo, s0
	s_and_saveexec_b32 s0, s3
	s_cbranch_execz .LBB30_24
	s_branch .LBB30_56
.LBB30_49:                              ;   in Loop: Header=BB30_25 Depth=1
                                        ; implicit-def: $vgpr11_vgpr12
	s_branch .LBB30_35
.LBB30_50:                              ;   in Loop: Header=BB30_25 Depth=1
                                        ; implicit-def: $vgpr7_vgpr8
	s_branch .LBB30_38
.LBB30_51:                              ;   in Loop: Header=BB30_25 Depth=1
                                        ; implicit-def: $vgpr3_vgpr4
	s_branch .LBB30_41
.LBB30_52:                              ;   in Loop: Header=BB30_25 Depth=1
                                        ; implicit-def: $vgpr9_vgpr10
	s_branch .LBB30_44
.LBB30_53:                              ;   in Loop: Header=BB30_25 Depth=1
	v_add_co_u32 v5, vcc_lo, v21, s6
	v_add_co_ci_u32_e32 v6, vcc_lo, s7, v22, vcc_lo
	global_store_b64 v[5:6], v[11:12], off
	s_or_b32 exec_lo, exec_lo, s0
	s_and_saveexec_b32 s0, s1
	s_cbranch_execz .LBB30_47
.LBB30_54:                              ;   in Loop: Header=BB30_25 Depth=1
	v_add_co_u32 v5, vcc_lo, v39, s6
	v_add_co_ci_u32_e32 v6, vcc_lo, s7, v40, vcc_lo
	global_store_b64 v[5:6], v[7:8], off
	s_or_b32 exec_lo, exec_lo, s0
	s_and_saveexec_b32 s0, s2
	s_cbranch_execz .LBB30_48
.LBB30_55:                              ;   in Loop: Header=BB30_25 Depth=1
	v_add_co_u32 v5, vcc_lo, v31, s6
	v_add_co_ci_u32_e32 v6, vcc_lo, s7, v32, vcc_lo
	global_store_b64 v[5:6], v[3:4], off
	s_or_b32 exec_lo, exec_lo, s0
	s_and_saveexec_b32 s0, s3
	s_cbranch_execz .LBB30_24
.LBB30_56:                              ;   in Loop: Header=BB30_25 Depth=1
	v_add_co_u32 v3, vcc_lo, v25, s6
	v_add_co_ci_u32_e32 v4, vcc_lo, s7, v26, vcc_lo
	global_store_b64 v[3:4], v[9:10], off
	s_branch .LBB30_24
.LBB30_57:
	s_nop 0
	s_sendmsg sendmsg(MSG_DEALLOC_VGPRS)
	s_endpgm
	.section	.rodata,"a",@progbits
	.p2align	6, 0x0
	.amdhsa_kernel _ZN2at6native12_GLOBAL__N_125multi_tensor_apply_kernelINS1_28TensorListScalarListMetadataIdLi2EEENS1_26TernaryOpScalarListFunctorIdLi2ELi2ELi0EEEJNS0_11LerpFunctorIdEEEEEvT_T0_DpT1_
		.amdhsa_group_segment_fixed_size 0
		.amdhsa_private_segment_fixed_size 0
		.amdhsa_kernarg_size 3912
		.amdhsa_user_sgpr_count 15
		.amdhsa_user_sgpr_dispatch_ptr 0
		.amdhsa_user_sgpr_queue_ptr 0
		.amdhsa_user_sgpr_kernarg_segment_ptr 1
		.amdhsa_user_sgpr_dispatch_id 0
		.amdhsa_user_sgpr_private_segment_size 0
		.amdhsa_wavefront_size32 1
		.amdhsa_uses_dynamic_stack 0
		.amdhsa_enable_private_segment 0
		.amdhsa_system_sgpr_workgroup_id_x 1
		.amdhsa_system_sgpr_workgroup_id_y 0
		.amdhsa_system_sgpr_workgroup_id_z 0
		.amdhsa_system_sgpr_workgroup_info 0
		.amdhsa_system_vgpr_workitem_id 0
		.amdhsa_next_free_vgpr 43
		.amdhsa_next_free_sgpr 26
		.amdhsa_reserve_vcc 1
		.amdhsa_float_round_mode_32 0
		.amdhsa_float_round_mode_16_64 0
		.amdhsa_float_denorm_mode_32 3
		.amdhsa_float_denorm_mode_16_64 3
		.amdhsa_dx10_clamp 1
		.amdhsa_ieee_mode 1
		.amdhsa_fp16_overflow 0
		.amdhsa_workgroup_processor_mode 1
		.amdhsa_memory_ordered 1
		.amdhsa_forward_progress 0
		.amdhsa_shared_vgpr_count 0
		.amdhsa_exception_fp_ieee_invalid_op 0
		.amdhsa_exception_fp_denorm_src 0
		.amdhsa_exception_fp_ieee_div_zero 0
		.amdhsa_exception_fp_ieee_overflow 0
		.amdhsa_exception_fp_ieee_underflow 0
		.amdhsa_exception_fp_ieee_inexact 0
		.amdhsa_exception_int_div_zero 0
	.end_amdhsa_kernel
	.section	.text._ZN2at6native12_GLOBAL__N_125multi_tensor_apply_kernelINS1_28TensorListScalarListMetadataIdLi2EEENS1_26TernaryOpScalarListFunctorIdLi2ELi2ELi0EEEJNS0_11LerpFunctorIdEEEEEvT_T0_DpT1_,"axG",@progbits,_ZN2at6native12_GLOBAL__N_125multi_tensor_apply_kernelINS1_28TensorListScalarListMetadataIdLi2EEENS1_26TernaryOpScalarListFunctorIdLi2ELi2ELi0EEEJNS0_11LerpFunctorIdEEEEEvT_T0_DpT1_,comdat
.Lfunc_end30:
	.size	_ZN2at6native12_GLOBAL__N_125multi_tensor_apply_kernelINS1_28TensorListScalarListMetadataIdLi2EEENS1_26TernaryOpScalarListFunctorIdLi2ELi2ELi0EEEJNS0_11LerpFunctorIdEEEEEvT_T0_DpT1_, .Lfunc_end30-_ZN2at6native12_GLOBAL__N_125multi_tensor_apply_kernelINS1_28TensorListScalarListMetadataIdLi2EEENS1_26TernaryOpScalarListFunctorIdLi2ELi2ELi0EEEJNS0_11LerpFunctorIdEEEEEvT_T0_DpT1_
                                        ; -- End function
	.section	.AMDGPU.csdata,"",@progbits
; Kernel info:
; codeLenInByte = 1892
; NumSgprs: 28
; NumVgprs: 43
; ScratchSize: 0
; MemoryBound: 1
; FloatMode: 240
; IeeeMode: 1
; LDSByteSize: 0 bytes/workgroup (compile time only)
; SGPRBlocks: 3
; VGPRBlocks: 5
; NumSGPRsForWavesPerEU: 28
; NumVGPRsForWavesPerEU: 43
; Occupancy: 16
; WaveLimiterHint : 1
; COMPUTE_PGM_RSRC2:SCRATCH_EN: 0
; COMPUTE_PGM_RSRC2:USER_SGPR: 15
; COMPUTE_PGM_RSRC2:TRAP_HANDLER: 0
; COMPUTE_PGM_RSRC2:TGID_X_EN: 1
; COMPUTE_PGM_RSRC2:TGID_Y_EN: 0
; COMPUTE_PGM_RSRC2:TGID_Z_EN: 0
; COMPUTE_PGM_RSRC2:TIDIG_COMP_CNT: 0
	.section	.text._ZN2at6native12_GLOBAL__N_125multi_tensor_apply_kernelINS1_28TensorListScalarListMetadataIfLi2EEENS1_26TernaryOpScalarListFunctorIfLi2ELi2ELi0EEEJNS0_11LerpFunctorIfEEEEEvT_T0_DpT1_,"axG",@progbits,_ZN2at6native12_GLOBAL__N_125multi_tensor_apply_kernelINS1_28TensorListScalarListMetadataIfLi2EEENS1_26TernaryOpScalarListFunctorIfLi2ELi2ELi0EEEJNS0_11LerpFunctorIfEEEEEvT_T0_DpT1_,comdat
	.globl	_ZN2at6native12_GLOBAL__N_125multi_tensor_apply_kernelINS1_28TensorListScalarListMetadataIfLi2EEENS1_26TernaryOpScalarListFunctorIfLi2ELi2ELi0EEEJNS0_11LerpFunctorIfEEEEEvT_T0_DpT1_ ; -- Begin function _ZN2at6native12_GLOBAL__N_125multi_tensor_apply_kernelINS1_28TensorListScalarListMetadataIfLi2EEENS1_26TernaryOpScalarListFunctorIfLi2ELi2ELi0EEEJNS0_11LerpFunctorIfEEEEEvT_T0_DpT1_
	.p2align	8
	.type	_ZN2at6native12_GLOBAL__N_125multi_tensor_apply_kernelINS1_28TensorListScalarListMetadataIfLi2EEENS1_26TernaryOpScalarListFunctorIfLi2ELi2ELi0EEEJNS0_11LerpFunctorIfEEEEEvT_T0_DpT1_,@function
_ZN2at6native12_GLOBAL__N_125multi_tensor_apply_kernelINS1_28TensorListScalarListMetadataIfLi2EEENS1_26TernaryOpScalarListFunctorIfLi2ELi2ELi0EEEJNS0_11LerpFunctorIfEEEEEvT_T0_DpT1_: ; @_ZN2at6native12_GLOBAL__N_125multi_tensor_apply_kernelINS1_28TensorListScalarListMetadataIfLi2EEENS1_26TernaryOpScalarListFunctorIfLi2ELi2ELi0EEEJNS0_11LerpFunctorIfEEEEEvT_T0_DpT1_
; %bb.0:
	v_mov_b32_e32 v1, s15
	s_add_u32 s2, s0, s15
	s_mul_hi_u32 s3, s15, 3
	s_mul_i32 s15, s15, 3
	s_addc_u32 s4, s1, 0
	global_load_u8 v1, v1, s[0:1] offset:1792
	s_add_u32 s2, s2, s15
	s_addc_u32 s3, s4, s3
	s_mov_b32 s19, 0
	s_load_b32 s2, s[2:3], 0x840
	s_waitcnt vmcnt(0)
	v_readfirstlane_b32 s3, v1
	v_lshlrev_b32_e32 v1, 2, v1
	s_delay_alu instid0(VALU_DEP_2)
	s_lshl_b32 s4, s3, 3
	s_waitcnt lgkmcnt(0)
	s_ashr_i32 s3, s2, 31
	s_clause 0x2
	s_load_b64 s[8:9], s[0:1], s4 offset:0x400
	s_load_b64 s[14:15], s[0:1], s4 offset:0x0
	;; [unrolled: 1-line block ×3, first 2 shown]
	s_add_u32 s4, s0, s4
	s_addc_u32 s5, s1, 0
	v_sub_co_u32 v1, s4, s4, v1
	s_delay_alu instid0(VALU_DEP_1) | instskip(SKIP_1) | instid1(VALU_DEP_2)
	v_sub_co_ci_u32_e64 v2, null, s5, 0, s4
	s_lshl_b64 s[6:7], s[2:3], 18
	v_readfirstlane_b32 s4, v1
	s_delay_alu instid0(VALU_DEP_2)
	v_readfirstlane_b32 s5, v2
	s_load_b32 s5, s[4:5], 0x600
	s_waitcnt lgkmcnt(0)
	s_add_u32 s10, s14, s6
	s_addc_u32 s11, s15, s7
	s_and_b32 s4, s10, 15
	s_add_u32 s16, s12, s6
	s_addc_u32 s17, s13, s7
	s_and_b32 s18, s8, 3
	s_and_b32 s20, s16, 15
	s_or_b32 s4, s4, s18
	s_lshl_b64 s[2:3], s[2:3], 16
	s_or_b32 s18, s20, s4
	s_sub_u32 s8, s8, s2
	s_subb_u32 s9, s9, s3
	s_cmp_eq_u64 s[18:19], 0
	s_mov_b32 s2, -1
	s_cbranch_scc0 .LBB31_5
; %bb.1:
	v_dual_mov_b32 v2, 0 :: v_dual_lshlrev_b32 v1, 2, v0
	s_mov_b32 s18, exec_lo
	s_delay_alu instid0(VALU_DEP_1)
	v_cmpx_gt_i64_e64 s[8:9], v[1:2]
	s_cbranch_execz .LBB31_4
; %bb.2:
	s_load_b32 s2, s[0:1], 0xd54
	v_cmp_lt_f32_e64 vcc_lo, |s5|, 0.5
	v_sub_f32_e64 v3, 1.0, s5
	v_lshlrev_b32_e32 v4, 4, v0
	s_waitcnt lgkmcnt(0)
	s_and_b32 s2, s2, 0xffff
	s_delay_alu instid0(SALU_CYCLE_1)
	v_add_lshl_u32 v1, v0, s2, 2
	s_lshl_b32 s20, s2, 2
	s_lshl_b32 s21, s2, 4
.LBB31_3:                               ; =>This Inner Loop Header: Depth=1
	v_add_co_u32 v13, s2, s10, v4
	s_delay_alu instid0(VALU_DEP_1) | instskip(SKIP_1) | instid1(VALU_DEP_1)
	v_add_co_ci_u32_e64 v14, null, s11, 0, s2
	v_add_co_u32 v9, s2, s16, v4
	v_add_co_ci_u32_e64 v10, null, s17, 0, s2
	global_load_b128 v[5:8], v[13:14], off
	global_load_b128 v[9:12], v[9:10], off
	v_cmp_le_i64_e64 s2, s[8:9], v[1:2]
	v_cmp_lt_u64_e64 s3, 0xffff, v[1:2]
	v_add_co_u32 v1, s4, v1, s20
	s_delay_alu instid0(VALU_DEP_1) | instskip(NEXT) | instid1(VALU_DEP_3)
	v_add_co_ci_u32_e64 v2, s4, 0, v2, s4
	s_or_b32 s2, s2, s3
	s_add_u32 s10, s10, s21
	s_addc_u32 s11, s11, 0
	s_add_u32 s16, s16, s21
	s_addc_u32 s17, s17, 0
	s_and_b32 s2, exec_lo, s2
	s_delay_alu instid0(SALU_CYCLE_1) | instskip(SKIP_3) | instid1(VALU_DEP_2)
	s_or_b32 s19, s2, s19
	s_waitcnt vmcnt(0)
	v_dual_sub_f32 v15, v9, v5 :: v_dual_sub_f32 v16, v10, v6
	v_dual_sub_f32 v17, v11, v7 :: v_dual_sub_f32 v18, v12, v8
	v_fma_f32 v5, s5, v15, v5
	v_fma_f32 v9, -v3, v15, v9
	s_delay_alu instid0(VALU_DEP_4)
	v_fma_f32 v6, s5, v16, v6
	v_fma_f32 v10, -v3, v16, v10
	v_fma_f32 v7, s5, v17, v7
	v_fma_f32 v11, -v3, v17, v11
	v_dual_fmac_f32 v8, s5, v18 :: v_dual_cndmask_b32 v5, v9, v5
	v_fma_f32 v12, -v3, v18, v12
	s_delay_alu instid0(VALU_DEP_3) | instskip(NEXT) | instid1(VALU_DEP_2)
	v_dual_cndmask_b32 v6, v10, v6 :: v_dual_cndmask_b32 v7, v11, v7
	v_cndmask_b32_e32 v8, v12, v8, vcc_lo
	global_store_b128 v[13:14], v[5:8], off
	s_and_not1_b32 exec_lo, exec_lo, s19
	s_cbranch_execnz .LBB31_3
.LBB31_4:
	s_or_b32 exec_lo, exec_lo, s18
	s_mov_b32 s2, 0
.LBB31_5:
	s_delay_alu instid0(SALU_CYCLE_1)
	s_and_not1_b32 vcc_lo, exec_lo, s2
	s_cbranch_vccnz .LBB31_25
; %bb.6:
	v_cmp_lt_i64_e64 s2, s[8:9], 1
	s_delay_alu instid0(VALU_DEP_1)
	s_and_b32 vcc_lo, exec_lo, s2
	s_cbranch_vccnz .LBB31_25
; %bb.7:
	s_load_b32 s1, s[0:1], 0xd54
	v_dual_mov_b32 v11, 0 :: v_dual_lshlrev_b32 v10, 2, v0
	v_cmp_gt_u64_e64 s2, 0x10000, s[8:9]
	v_cmp_lt_f32_e64 s0, |s5|, 0.5
	v_sub_f32_e64 v1, 1.0, s5
	s_delay_alu instid0(VALU_DEP_4) | instskip(NEXT) | instid1(VALU_DEP_1)
	v_add_co_u32 v2, s3, s14, v10
	v_add_co_ci_u32_e64 v3, null, s15, 0, s3
	v_add_co_u32 v4, s3, s12, v10
	s_delay_alu instid0(VALU_DEP_1)
	v_add_co_ci_u32_e64 v5, null, s13, 0, s3
	s_waitcnt lgkmcnt(0)
	s_and_b32 s1, s1, 0xffff
	s_and_b32 s2, s2, exec_lo
	v_mad_u64_u32 v[8:9], null, s1, 12, v[10:11]
	s_cselect_b32 s11, s9, 0
	s_cselect_b32 s10, s8, 0x10000
	s_mul_i32 s3, s1, 3
	s_lshl_b32 s4, s1, 3
	s_lshl_b32 s2, s1, 1
	v_add_co_u32 v15, s4, s4, v10
	v_add_co_u32 v10, s3, s3, v0
	s_delay_alu instid0(VALU_DEP_1) | instskip(SKIP_3) | instid1(VALU_DEP_3)
	v_add_co_ci_u32_e64 v11, null, 0, 0, s3
	v_add_co_u32 v14, s3, v0, s1
	v_add_co_u32 v6, vcc_lo, s14, v8
	v_add_co_ci_u32_e32 v7, vcc_lo, s15, v9, vcc_lo
	v_lshlrev_b32_e32 v22, 2, v14
	v_add_co_u32 v8, vcc_lo, s12, v8
	v_add_co_ci_u32_e64 v16, null, 0, 0, s4
	v_add_co_ci_u32_e32 v9, vcc_lo, s13, v9, vcc_lo
	v_add_co_u32 v18, s2, s2, v0
	v_add_co_u32 v12, vcc_lo, s14, v15
	v_add_co_ci_u32_e64 v19, null, 0, 0, s2
	v_add_co_u32 v20, s2, s14, v22
	v_add_co_ci_u32_e32 v13, vcc_lo, s15, v16, vcc_lo
	v_add_co_u32 v15, vcc_lo, s12, v15
	v_add_co_ci_u32_e64 v21, null, s15, 0, s2
	v_add_co_u32 v22, s2, s12, v22
	v_add_co_ci_u32_e32 v16, vcc_lo, s13, v16, vcc_lo
	v_add_co_ci_u32_e64 v17, null, 0, 0, s3
	v_add_co_ci_u32_e64 v23, null, s13, 0, s2
	s_lshl_b32 s14, s1, 2
	s_lshl_b32 s15, s1, 4
	s_mov_b64 s[12:13], 0
	s_branch .LBB31_9
.LBB31_8:                               ;   in Loop: Header=BB31_9 Depth=1
	s_or_b32 exec_lo, exec_lo, s1
	v_add_co_u32 v2, vcc_lo, v2, s15
	v_add_co_ci_u32_e32 v3, vcc_lo, 0, v3, vcc_lo
	v_add_co_u32 v4, vcc_lo, v4, s15
	v_add_co_ci_u32_e32 v5, vcc_lo, 0, v5, vcc_lo
	v_add_co_u32 v6, vcc_lo, v6, s15
	v_add_co_ci_u32_e32 v7, vcc_lo, 0, v7, vcc_lo
	v_add_co_u32 v8, vcc_lo, v8, s15
	v_add_co_ci_u32_e32 v9, vcc_lo, 0, v9, vcc_lo
	v_add_co_u32 v12, vcc_lo, v12, s15
	v_add_co_ci_u32_e32 v13, vcc_lo, 0, v13, vcc_lo
	s_add_u32 s12, s12, s14
	v_add_co_u32 v15, vcc_lo, v15, s15
	s_addc_u32 s13, s13, 0
	v_add_co_ci_u32_e32 v16, vcc_lo, 0, v16, vcc_lo
	v_cmp_ge_i64_e64 s1, s[12:13], s[8:9]
	v_cmp_lt_u64_e64 s2, 0xffff, s[12:13]
	v_add_co_u32 v20, vcc_lo, v20, s15
	v_add_co_ci_u32_e32 v21, vcc_lo, 0, v21, vcc_lo
	v_add_co_u32 v22, vcc_lo, v22, s15
	v_add_co_ci_u32_e32 v23, vcc_lo, 0, v23, vcc_lo
	s_or_b32 s1, s1, s2
	s_delay_alu instid0(SALU_CYCLE_1)
	s_and_b32 vcc_lo, exec_lo, s1
	s_cbranch_vccnz .LBB31_25
.LBB31_9:                               ; =>This Inner Loop Header: Depth=1
	s_waitcnt vmcnt(1)
	v_add_co_u32 v24, s1, v0, s12
	s_delay_alu instid0(VALU_DEP_1) | instskip(SKIP_2) | instid1(VALU_DEP_2)
	v_add_co_ci_u32_e64 v25, null, 0, s13, s1
	s_waitcnt vmcnt(0)
	v_mov_b32_e32 v26, 0
	v_cmp_gt_u64_e32 vcc_lo, s[10:11], v[24:25]
	v_mov_b32_e32 v25, 0
	s_and_saveexec_b32 s2, vcc_lo
	s_cbranch_execz .LBB31_11
; %bb.10:                               ;   in Loop: Header=BB31_9 Depth=1
	v_add_co_u32 v24, s1, v2, s6
	s_delay_alu instid0(VALU_DEP_1) | instskip(SKIP_1) | instid1(VALU_DEP_1)
	v_add_co_ci_u32_e64 v25, s1, s7, v3, s1
	v_add_co_u32 v26, s1, v4, s6
	v_add_co_ci_u32_e64 v27, s1, s7, v5, s1
	global_load_b32 v25, v[24:25], off
	global_load_b32 v26, v[26:27], off
.LBB31_11:                              ;   in Loop: Header=BB31_9 Depth=1
	s_or_b32 exec_lo, exec_lo, s2
	v_add_co_u32 v27, s1, v14, s12
	s_delay_alu instid0(VALU_DEP_1) | instskip(SKIP_1) | instid1(VALU_DEP_2)
	v_add_co_ci_u32_e64 v28, s1, s13, v17, s1
	v_mov_b32_e32 v24, 0
	v_cmp_gt_u64_e64 s1, s[10:11], v[27:28]
	v_dual_mov_b32 v27, 0 :: v_dual_mov_b32 v28, 0
	s_delay_alu instid0(VALU_DEP_2)
	s_and_saveexec_b32 s3, s1
	s_cbranch_execz .LBB31_13
; %bb.12:                               ;   in Loop: Header=BB31_9 Depth=1
	v_add_co_u32 v27, s2, v20, s6
	s_delay_alu instid0(VALU_DEP_1) | instskip(SKIP_1) | instid1(VALU_DEP_1)
	v_add_co_ci_u32_e64 v28, s2, s7, v21, s2
	v_add_co_u32 v29, s2, v22, s6
	v_add_co_ci_u32_e64 v30, s2, s7, v23, s2
	global_load_b32 v27, v[27:28], off
	global_load_b32 v28, v[29:30], off
.LBB31_13:                              ;   in Loop: Header=BB31_9 Depth=1
	s_or_b32 exec_lo, exec_lo, s3
	v_add_co_u32 v29, s2, v18, s12
	s_delay_alu instid0(VALU_DEP_1) | instskip(NEXT) | instid1(VALU_DEP_1)
	v_add_co_ci_u32_e64 v30, s2, s13, v19, s2
	v_cmp_gt_u64_e64 s2, s[10:11], v[29:30]
	v_mov_b32_e32 v29, 0
	s_delay_alu instid0(VALU_DEP_2)
	s_and_saveexec_b32 s4, s2
	s_cbranch_execz .LBB31_15
; %bb.14:                               ;   in Loop: Header=BB31_9 Depth=1
	v_add_co_u32 v29, s3, v12, s6
	s_delay_alu instid0(VALU_DEP_1) | instskip(SKIP_1) | instid1(VALU_DEP_1)
	v_add_co_ci_u32_e64 v30, s3, s7, v13, s3
	v_add_co_u32 v31, s3, v15, s6
	v_add_co_ci_u32_e64 v32, s3, s7, v16, s3
	global_load_b32 v24, v[29:30], off
	global_load_b32 v29, v[31:32], off
.LBB31_15:                              ;   in Loop: Header=BB31_9 Depth=1
	s_or_b32 exec_lo, exec_lo, s4
	v_add_co_u32 v30, s3, v10, s12
	s_delay_alu instid0(VALU_DEP_1) | instskip(NEXT) | instid1(VALU_DEP_1)
	v_add_co_ci_u32_e64 v31, s3, s13, v11, s3
	v_cmp_gt_u64_e64 s3, s[10:11], v[30:31]
	v_dual_mov_b32 v30, 0 :: v_dual_mov_b32 v31, 0
	s_delay_alu instid0(VALU_DEP_2)
	s_and_saveexec_b32 s16, s3
	s_cbranch_execnz .LBB31_20
; %bb.16:                               ;   in Loop: Header=BB31_9 Depth=1
	s_or_b32 exec_lo, exec_lo, s16
	s_and_saveexec_b32 s4, vcc_lo
	s_cbranch_execnz .LBB31_21
.LBB31_17:                              ;   in Loop: Header=BB31_9 Depth=1
	s_or_b32 exec_lo, exec_lo, s4
	s_and_saveexec_b32 s4, s1
	s_cbranch_execnz .LBB31_22
.LBB31_18:                              ;   in Loop: Header=BB31_9 Depth=1
	s_or_b32 exec_lo, exec_lo, s4
	s_and_saveexec_b32 s1, s2
	s_cbranch_execnz .LBB31_23
.LBB31_19:                              ;   in Loop: Header=BB31_9 Depth=1
	s_or_b32 exec_lo, exec_lo, s1
	s_and_saveexec_b32 s1, s3
	s_cbranch_execz .LBB31_8
	s_branch .LBB31_24
.LBB31_20:                              ;   in Loop: Header=BB31_9 Depth=1
	v_add_co_u32 v30, s4, v6, s6
	s_delay_alu instid0(VALU_DEP_1) | instskip(SKIP_1) | instid1(VALU_DEP_1)
	v_add_co_ci_u32_e64 v31, s4, s7, v7, s4
	v_add_co_u32 v32, s4, v8, s6
	v_add_co_ci_u32_e64 v33, s4, s7, v9, s4
	global_load_b32 v30, v[30:31], off
	global_load_b32 v31, v[32:33], off
	s_or_b32 exec_lo, exec_lo, s16
	s_and_saveexec_b32 s4, vcc_lo
	s_cbranch_execz .LBB31_17
.LBB31_21:                              ;   in Loop: Header=BB31_9 Depth=1
	s_waitcnt vmcnt(0)
	v_sub_f32_e32 v32, v26, v25
	s_delay_alu instid0(VALU_DEP_1) | instskip(SKIP_3) | instid1(VALU_DEP_3)
	v_fmac_f32_e32 v25, s5, v32
	v_fma_f32 v26, -v1, v32, v26
	v_add_co_u32 v32, vcc_lo, v2, s6
	v_add_co_ci_u32_e32 v33, vcc_lo, s7, v3, vcc_lo
	v_cndmask_b32_e64 v25, v26, v25, s0
	global_store_b32 v[32:33], v25, off
	s_or_b32 exec_lo, exec_lo, s4
	s_and_saveexec_b32 s4, s1
	s_cbranch_execz .LBB31_18
.LBB31_22:                              ;   in Loop: Header=BB31_9 Depth=1
	s_waitcnt vmcnt(0)
	v_sub_f32_e32 v25, v28, v27
	s_delay_alu instid0(VALU_DEP_1) | instskip(SKIP_1) | instid1(VALU_DEP_1)
	v_fmac_f32_e32 v27, s5, v25
	v_fma_f32 v25, -v1, v25, v28
	v_cndmask_b32_e64 v27, v25, v27, s0
	v_add_co_u32 v25, vcc_lo, v20, s6
	v_add_co_ci_u32_e32 v26, vcc_lo, s7, v21, vcc_lo
	global_store_b32 v[25:26], v27, off
	s_or_b32 exec_lo, exec_lo, s4
	s_and_saveexec_b32 s1, s2
	s_cbranch_execz .LBB31_19
.LBB31_23:                              ;   in Loop: Header=BB31_9 Depth=1
	s_waitcnt vmcnt(0)
	v_sub_f32_e32 v25, v29, v24
	s_delay_alu instid0(VALU_DEP_1) | instskip(SKIP_1) | instid1(VALU_DEP_1)
	v_fmac_f32_e32 v24, s5, v25
	v_fma_f32 v25, -v1, v25, v29
	v_cndmask_b32_e64 v26, v25, v24, s0
	v_add_co_u32 v24, vcc_lo, v12, s6
	v_add_co_ci_u32_e32 v25, vcc_lo, s7, v13, vcc_lo
	global_store_b32 v[24:25], v26, off
	s_or_b32 exec_lo, exec_lo, s1
	s_and_saveexec_b32 s1, s3
	s_cbranch_execz .LBB31_8
.LBB31_24:                              ;   in Loop: Header=BB31_9 Depth=1
	s_waitcnt vmcnt(0)
	v_sub_f32_e32 v24, v31, v30
	s_delay_alu instid0(VALU_DEP_1) | instskip(SKIP_1) | instid1(VALU_DEP_1)
	v_fmac_f32_e32 v30, s5, v24
	v_fma_f32 v24, -v1, v24, v31
	v_cndmask_b32_e64 v26, v24, v30, s0
	v_add_co_u32 v24, vcc_lo, v6, s6
	v_add_co_ci_u32_e32 v25, vcc_lo, s7, v7, vcc_lo
	global_store_b32 v[24:25], v26, off
	s_branch .LBB31_8
.LBB31_25:
	s_nop 0
	s_sendmsg sendmsg(MSG_DEALLOC_VGPRS)
	s_endpgm
	.section	.rodata,"a",@progbits
	.p2align	6, 0x0
	.amdhsa_kernel _ZN2at6native12_GLOBAL__N_125multi_tensor_apply_kernelINS1_28TensorListScalarListMetadataIfLi2EEENS1_26TernaryOpScalarListFunctorIfLi2ELi2ELi0EEEJNS0_11LerpFunctorIfEEEEEvT_T0_DpT1_
		.amdhsa_group_segment_fixed_size 0
		.amdhsa_private_segment_fixed_size 0
		.amdhsa_kernarg_size 3656
		.amdhsa_user_sgpr_count 15
		.amdhsa_user_sgpr_dispatch_ptr 0
		.amdhsa_user_sgpr_queue_ptr 0
		.amdhsa_user_sgpr_kernarg_segment_ptr 1
		.amdhsa_user_sgpr_dispatch_id 0
		.amdhsa_user_sgpr_private_segment_size 0
		.amdhsa_wavefront_size32 1
		.amdhsa_uses_dynamic_stack 0
		.amdhsa_enable_private_segment 0
		.amdhsa_system_sgpr_workgroup_id_x 1
		.amdhsa_system_sgpr_workgroup_id_y 0
		.amdhsa_system_sgpr_workgroup_id_z 0
		.amdhsa_system_sgpr_workgroup_info 0
		.amdhsa_system_vgpr_workitem_id 0
		.amdhsa_next_free_vgpr 34
		.amdhsa_next_free_sgpr 22
		.amdhsa_reserve_vcc 1
		.amdhsa_float_round_mode_32 0
		.amdhsa_float_round_mode_16_64 0
		.amdhsa_float_denorm_mode_32 3
		.amdhsa_float_denorm_mode_16_64 3
		.amdhsa_dx10_clamp 1
		.amdhsa_ieee_mode 1
		.amdhsa_fp16_overflow 0
		.amdhsa_workgroup_processor_mode 1
		.amdhsa_memory_ordered 1
		.amdhsa_forward_progress 0
		.amdhsa_shared_vgpr_count 0
		.amdhsa_exception_fp_ieee_invalid_op 0
		.amdhsa_exception_fp_denorm_src 0
		.amdhsa_exception_fp_ieee_div_zero 0
		.amdhsa_exception_fp_ieee_overflow 0
		.amdhsa_exception_fp_ieee_underflow 0
		.amdhsa_exception_fp_ieee_inexact 0
		.amdhsa_exception_int_div_zero 0
	.end_amdhsa_kernel
	.section	.text._ZN2at6native12_GLOBAL__N_125multi_tensor_apply_kernelINS1_28TensorListScalarListMetadataIfLi2EEENS1_26TernaryOpScalarListFunctorIfLi2ELi2ELi0EEEJNS0_11LerpFunctorIfEEEEEvT_T0_DpT1_,"axG",@progbits,_ZN2at6native12_GLOBAL__N_125multi_tensor_apply_kernelINS1_28TensorListScalarListMetadataIfLi2EEENS1_26TernaryOpScalarListFunctorIfLi2ELi2ELi0EEEJNS0_11LerpFunctorIfEEEEEvT_T0_DpT1_,comdat
.Lfunc_end31:
	.size	_ZN2at6native12_GLOBAL__N_125multi_tensor_apply_kernelINS1_28TensorListScalarListMetadataIfLi2EEENS1_26TernaryOpScalarListFunctorIfLi2ELi2ELi0EEEJNS0_11LerpFunctorIfEEEEEvT_T0_DpT1_, .Lfunc_end31-_ZN2at6native12_GLOBAL__N_125multi_tensor_apply_kernelINS1_28TensorListScalarListMetadataIfLi2EEENS1_26TernaryOpScalarListFunctorIfLi2ELi2ELi0EEEJNS0_11LerpFunctorIfEEEEEvT_T0_DpT1_
                                        ; -- End function
	.section	.AMDGPU.csdata,"",@progbits
; Kernel info:
; codeLenInByte = 1772
; NumSgprs: 24
; NumVgprs: 34
; ScratchSize: 0
; MemoryBound: 0
; FloatMode: 240
; IeeeMode: 1
; LDSByteSize: 0 bytes/workgroup (compile time only)
; SGPRBlocks: 2
; VGPRBlocks: 4
; NumSGPRsForWavesPerEU: 24
; NumVGPRsForWavesPerEU: 34
; Occupancy: 16
; WaveLimiterHint : 0
; COMPUTE_PGM_RSRC2:SCRATCH_EN: 0
; COMPUTE_PGM_RSRC2:USER_SGPR: 15
; COMPUTE_PGM_RSRC2:TRAP_HANDLER: 0
; COMPUTE_PGM_RSRC2:TGID_X_EN: 1
; COMPUTE_PGM_RSRC2:TGID_Y_EN: 0
; COMPUTE_PGM_RSRC2:TGID_Z_EN: 0
; COMPUTE_PGM_RSRC2:TIDIG_COMP_CNT: 0
	.section	.text._ZN2at6native12_GLOBAL__N_125multi_tensor_apply_kernelINS1_28TensorListScalarListMetadataIN3c107complexIdEELi2EEENS1_26TernaryOpScalarListFunctorIS6_Li2ELi2ELi0EEEJNS0_11LerpFunctorIS6_EEEEEvT_T0_DpT1_,"axG",@progbits,_ZN2at6native12_GLOBAL__N_125multi_tensor_apply_kernelINS1_28TensorListScalarListMetadataIN3c107complexIdEELi2EEENS1_26TernaryOpScalarListFunctorIS6_Li2ELi2ELi0EEEJNS0_11LerpFunctorIS6_EEEEEvT_T0_DpT1_,comdat
	.globl	_ZN2at6native12_GLOBAL__N_125multi_tensor_apply_kernelINS1_28TensorListScalarListMetadataIN3c107complexIdEELi2EEENS1_26TernaryOpScalarListFunctorIS6_Li2ELi2ELi0EEEJNS0_11LerpFunctorIS6_EEEEEvT_T0_DpT1_ ; -- Begin function _ZN2at6native12_GLOBAL__N_125multi_tensor_apply_kernelINS1_28TensorListScalarListMetadataIN3c107complexIdEELi2EEENS1_26TernaryOpScalarListFunctorIS6_Li2ELi2ELi0EEEJNS0_11LerpFunctorIS6_EEEEEvT_T0_DpT1_
	.p2align	8
	.type	_ZN2at6native12_GLOBAL__N_125multi_tensor_apply_kernelINS1_28TensorListScalarListMetadataIN3c107complexIdEELi2EEENS1_26TernaryOpScalarListFunctorIS6_Li2ELi2ELi0EEEJNS0_11LerpFunctorIS6_EEEEEvT_T0_DpT1_,@function
_ZN2at6native12_GLOBAL__N_125multi_tensor_apply_kernelINS1_28TensorListScalarListMetadataIN3c107complexIdEELi2EEENS1_26TernaryOpScalarListFunctorIS6_Li2ELi2ELi0EEEJNS0_11LerpFunctorIS6_EEEEEvT_T0_DpT1_: ; @_ZN2at6native12_GLOBAL__N_125multi_tensor_apply_kernelINS1_28TensorListScalarListMetadataIN3c107complexIdEELi2EEENS1_26TernaryOpScalarListFunctorIS6_Li2ELi2ELi0EEEJNS0_11LerpFunctorIS6_EEEEEvT_T0_DpT1_
; %bb.0:
	v_mov_b32_e32 v1, s15
	s_add_u32 s2, s0, s15
	s_mul_hi_u32 s3, s15, 3
	s_mul_i32 s15, s15, 3
	s_addc_u32 s4, s1, 0
	global_load_u8 v1, v1, s[0:1] offset:2400
	s_add_u32 s2, s2, s15
	s_addc_u32 s3, s4, s3
	s_mov_b32 s23, 0
	s_load_b32 s2, s[2:3], 0xaa0
	s_waitcnt vmcnt(0)
	v_readfirstlane_b32 s3, v1
	s_delay_alu instid0(VALU_DEP_1)
	s_lshl_b32 s6, s3, 3
	s_waitcnt lgkmcnt(0)
	s_ashr_i32 s3, s2, 31
	s_clause 0x2
	s_load_b64 s[18:19], s[0:1], s6 offset:0x0
	s_load_b64 s[20:21], s[0:1], s6 offset:0x1e0
	;; [unrolled: 1-line block ×3, first 2 shown]
	s_add_u32 s4, s0, s6
	s_addc_u32 s5, s1, 0
	s_load_b128 s[8:11], s[4:5], s6 offset:0x5a0
	s_lshl_b64 s[6:7], s[2:3], 20
	s_waitcnt lgkmcnt(0)
	s_add_u32 s5, s18, s6
	s_addc_u32 s14, s19, s7
	s_add_u32 s15, s20, s6
	s_addc_u32 s16, s21, s7
	s_and_b32 s4, s5, 63
	s_and_b32 s17, s12, 3
	;; [unrolled: 1-line block ×3, first 2 shown]
	s_or_b32 s4, s4, s17
	s_lshl_b64 s[2:3], s[2:3], 16
	s_or_b32 s22, s22, s4
	s_sub_u32 s12, s12, s2
	s_subb_u32 s13, s13, s3
	s_cmp_eq_u64 s[22:23], 0
	s_mov_b32 s2, -1
	s_cbranch_scc0 .LBB32_21
; %bb.1:
	v_dual_mov_b32 v34, 0 :: v_dual_lshlrev_b32 v33, 2, v0
	s_mov_b32 s17, exec_lo
	s_delay_alu instid0(VALU_DEP_1)
	v_cmpx_gt_i64_e64 s[12:13], v[33:34]
	s_cbranch_execz .LBB32_20
; %bb.2:
	v_mul_f64 v[1:2], s[10:11], s[10:11]
	s_load_b32 s2, s[0:1], 0xfb4
	v_add_f64 v[35:36], -s[8:9], 1.0
	v_add_f64 v[37:38], -s[10:11], 0
	v_lshlrev_b32_e32 v45, 6, v0
	s_mov_b32 s22, 0
	s_waitcnt lgkmcnt(0)
	s_and_b32 s3, s2, 0xffff
	s_delay_alu instid0(SALU_CYCLE_1) | instskip(SKIP_3) | instid1(VALU_DEP_1)
	v_add_lshl_u32 v33, v0, s3, 2
	s_lshl_b32 s23, s3, 2
	s_lshl_b32 s24, s3, 6
	v_fma_f64 v[1:2], s[8:9], s[8:9], v[1:2]
	v_cmp_ngt_f64_e64 s2, 0x3fd00000, v[1:2]
	s_branch .LBB32_4
.LBB32_3:                               ;   in Loop: Header=BB32_4 Depth=1
	v_cmp_le_i64_e32 vcc_lo, s[12:13], v[33:34]
	v_cmp_lt_u64_e64 s3, 0xffff, v[33:34]
	v_add_co_u32 v33, s4, v33, s23
	s_delay_alu instid0(VALU_DEP_1)
	v_add_co_ci_u32_e64 v34, s4, 0, v34, s4
	s_clause 0x1
	global_store_b128 v[39:40], v[1:4], off
	global_store_b128 v[39:40], v[13:16], off offset:16
	s_or_b32 s3, vcc_lo, s3
	s_add_u32 s5, s5, s24
	s_addc_u32 s14, s14, 0
	s_add_u32 s15, s15, s24
	s_addc_u32 s16, s16, 0
	s_and_b32 s3, exec_lo, s3
	s_clause 0x1
	global_store_b128 v[39:40], v[21:24], off offset:32
	global_store_b128 v[39:40], v[9:12], off offset:48
	s_or_b32 s22, s3, s22
	s_delay_alu instid0(SALU_CYCLE_1)
	s_and_not1_b32 exec_lo, exec_lo, s22
	s_cbranch_execz .LBB32_20
.LBB32_4:                               ; =>This Inner Loop Header: Depth=1
	v_add_co_u32 v39, s3, s5, v45
	s_delay_alu instid0(VALU_DEP_1) | instskip(SKIP_1) | instid1(VALU_DEP_1)
	v_add_co_ci_u32_e64 v40, null, s14, 0, s3
	v_add_co_u32 v21, s3, s15, v45
	v_add_co_ci_u32_e64 v22, null, s16, 0, s3
	global_load_b128 v[29:32], v[39:40], off
	global_load_b128 v[1:4], v[21:22], off
	global_load_b128 v[25:28], v[39:40], off offset:16
	global_load_b128 v[13:16], v[21:22], off offset:16
	s_clause 0x1
	global_load_b128 v[5:8], v[39:40], off offset:48
	global_load_b128 v[17:20], v[39:40], off offset:32
	s_clause 0x1
	global_load_b128 v[9:12], v[21:22], off offset:48
	global_load_b128 v[21:24], v[21:22], off offset:32
	s_and_b32 vcc_lo, exec_lo, s2
	s_waitcnt vmcnt(6)
	v_add_f64 v[41:42], v[1:2], -v[29:30]
	v_add_f64 v[43:44], v[3:4], -v[31:32]
	s_cbranch_vccz .LBB32_6
; %bb.5:                                ;   in Loop: Header=BB32_4 Depth=1
	s_delay_alu instid0(VALU_DEP_1) | instskip(SKIP_1) | instid1(VALU_DEP_2)
	v_mul_f64 v[46:47], v[37:38], v[43:44]
	v_mul_f64 v[48:49], v[35:36], v[43:44]
	v_fma_f64 v[46:47], v[35:36], v[41:42], -v[46:47]
	s_delay_alu instid0(VALU_DEP_2) | instskip(NEXT) | instid1(VALU_DEP_2)
	v_fma_f64 v[48:49], v[37:38], v[41:42], v[48:49]
	v_add_f64 v[1:2], v[1:2], -v[46:47]
	s_delay_alu instid0(VALU_DEP_2)
	v_add_f64 v[3:4], v[3:4], -v[48:49]
	s_cbranch_execz .LBB32_7
	s_branch .LBB32_8
.LBB32_6:                               ;   in Loop: Header=BB32_4 Depth=1
                                        ; implicit-def: $vgpr3_vgpr4
.LBB32_7:                               ;   in Loop: Header=BB32_4 Depth=1
	s_delay_alu instid0(VALU_DEP_1) | instskip(SKIP_1) | instid1(VALU_DEP_2)
	v_mul_f64 v[1:2], s[10:11], v[43:44]
	v_mul_f64 v[3:4], s[8:9], v[43:44]
	v_fma_f64 v[1:2], s[8:9], v[41:42], -v[1:2]
	s_delay_alu instid0(VALU_DEP_2) | instskip(NEXT) | instid1(VALU_DEP_2)
	v_fma_f64 v[3:4], s[10:11], v[41:42], v[3:4]
	v_add_f64 v[1:2], v[29:30], v[1:2]
	s_delay_alu instid0(VALU_DEP_2)
	v_add_f64 v[3:4], v[31:32], v[3:4]
.LBB32_8:                               ;   in Loop: Header=BB32_4 Depth=1
	s_waitcnt vmcnt(4)
	v_add_f64 v[29:30], v[13:14], -v[25:26]
	v_add_f64 v[31:32], v[15:16], -v[27:28]
	s_and_not1_b32 vcc_lo, exec_lo, s2
	s_cbranch_vccnz .LBB32_10
; %bb.9:                                ;   in Loop: Header=BB32_4 Depth=1
	s_delay_alu instid0(VALU_DEP_1) | instskip(SKIP_1) | instid1(VALU_DEP_2)
	v_mul_f64 v[41:42], v[37:38], v[31:32]
	v_mul_f64 v[43:44], v[35:36], v[31:32]
	v_fma_f64 v[41:42], v[35:36], v[29:30], -v[41:42]
	s_delay_alu instid0(VALU_DEP_2) | instskip(NEXT) | instid1(VALU_DEP_2)
	v_fma_f64 v[43:44], v[37:38], v[29:30], v[43:44]
	v_add_f64 v[13:14], v[13:14], -v[41:42]
	s_delay_alu instid0(VALU_DEP_2)
	v_add_f64 v[15:16], v[15:16], -v[43:44]
	s_cbranch_execz .LBB32_11
	s_branch .LBB32_12
.LBB32_10:                              ;   in Loop: Header=BB32_4 Depth=1
                                        ; implicit-def: $vgpr15_vgpr16
.LBB32_11:                              ;   in Loop: Header=BB32_4 Depth=1
	s_delay_alu instid0(VALU_DEP_1) | instskip(SKIP_1) | instid1(VALU_DEP_2)
	v_mul_f64 v[13:14], s[10:11], v[31:32]
	v_mul_f64 v[15:16], s[8:9], v[31:32]
	v_fma_f64 v[13:14], s[8:9], v[29:30], -v[13:14]
	s_delay_alu instid0(VALU_DEP_2) | instskip(NEXT) | instid1(VALU_DEP_2)
	v_fma_f64 v[15:16], s[10:11], v[29:30], v[15:16]
	v_add_f64 v[13:14], v[25:26], v[13:14]
	s_delay_alu instid0(VALU_DEP_2)
	v_add_f64 v[15:16], v[27:28], v[15:16]
.LBB32_12:                              ;   in Loop: Header=BB32_4 Depth=1
	s_waitcnt vmcnt(0)
	v_add_f64 v[25:26], v[21:22], -v[17:18]
	v_add_f64 v[27:28], v[23:24], -v[19:20]
	s_and_not1_b32 vcc_lo, exec_lo, s2
	s_cbranch_vccnz .LBB32_14
; %bb.13:                               ;   in Loop: Header=BB32_4 Depth=1
	s_delay_alu instid0(VALU_DEP_1) | instskip(SKIP_1) | instid1(VALU_DEP_2)
	v_mul_f64 v[29:30], v[37:38], v[27:28]
	v_mul_f64 v[31:32], v[35:36], v[27:28]
	v_fma_f64 v[29:30], v[35:36], v[25:26], -v[29:30]
	s_delay_alu instid0(VALU_DEP_2) | instskip(NEXT) | instid1(VALU_DEP_2)
	v_fma_f64 v[31:32], v[37:38], v[25:26], v[31:32]
	v_add_f64 v[21:22], v[21:22], -v[29:30]
	s_delay_alu instid0(VALU_DEP_2)
	v_add_f64 v[23:24], v[23:24], -v[31:32]
	s_cbranch_execz .LBB32_15
	s_branch .LBB32_16
.LBB32_14:                              ;   in Loop: Header=BB32_4 Depth=1
                                        ; implicit-def: $vgpr23_vgpr24
.LBB32_15:                              ;   in Loop: Header=BB32_4 Depth=1
	s_delay_alu instid0(VALU_DEP_1) | instskip(SKIP_1) | instid1(VALU_DEP_2)
	v_mul_f64 v[21:22], s[10:11], v[27:28]
	v_mul_f64 v[23:24], s[8:9], v[27:28]
	v_fma_f64 v[21:22], s[8:9], v[25:26], -v[21:22]
	s_delay_alu instid0(VALU_DEP_2) | instskip(NEXT) | instid1(VALU_DEP_2)
	v_fma_f64 v[23:24], s[10:11], v[25:26], v[23:24]
	v_add_f64 v[21:22], v[17:18], v[21:22]
	s_delay_alu instid0(VALU_DEP_2)
	v_add_f64 v[23:24], v[19:20], v[23:24]
.LBB32_16:                              ;   in Loop: Header=BB32_4 Depth=1
	v_add_f64 v[17:18], v[9:10], -v[5:6]
	v_add_f64 v[19:20], v[11:12], -v[7:8]
	s_and_not1_b32 vcc_lo, exec_lo, s2
	s_cbranch_vccnz .LBB32_18
; %bb.17:                               ;   in Loop: Header=BB32_4 Depth=1
	s_delay_alu instid0(VALU_DEP_1) | instskip(SKIP_1) | instid1(VALU_DEP_2)
	v_mul_f64 v[25:26], v[37:38], v[19:20]
	v_mul_f64 v[27:28], v[35:36], v[19:20]
	v_fma_f64 v[25:26], v[35:36], v[17:18], -v[25:26]
	s_delay_alu instid0(VALU_DEP_2) | instskip(NEXT) | instid1(VALU_DEP_2)
	v_fma_f64 v[27:28], v[37:38], v[17:18], v[27:28]
	v_add_f64 v[9:10], v[9:10], -v[25:26]
	s_delay_alu instid0(VALU_DEP_2)
	v_add_f64 v[11:12], v[11:12], -v[27:28]
	s_cbranch_execnz .LBB32_3
	s_branch .LBB32_19
.LBB32_18:                              ;   in Loop: Header=BB32_4 Depth=1
                                        ; implicit-def: $vgpr11_vgpr12
.LBB32_19:                              ;   in Loop: Header=BB32_4 Depth=1
	s_delay_alu instid0(VALU_DEP_1) | instskip(SKIP_1) | instid1(VALU_DEP_2)
	v_mul_f64 v[9:10], s[10:11], v[19:20]
	v_mul_f64 v[11:12], s[8:9], v[19:20]
	v_fma_f64 v[9:10], s[8:9], v[17:18], -v[9:10]
	s_delay_alu instid0(VALU_DEP_2) | instskip(NEXT) | instid1(VALU_DEP_2)
	v_fma_f64 v[11:12], s[10:11], v[17:18], v[11:12]
	v_add_f64 v[9:10], v[5:6], v[9:10]
	s_delay_alu instid0(VALU_DEP_2)
	v_add_f64 v[11:12], v[7:8], v[11:12]
	s_branch .LBB32_3
.LBB32_20:
	s_or_b32 exec_lo, exec_lo, s17
	s_mov_b32 s2, 0
.LBB32_21:
	s_delay_alu instid0(SALU_CYCLE_1)
	s_and_not1_b32 vcc_lo, exec_lo, s2
	s_cbranch_vccnz .LBB32_57
; %bb.22:
	v_cmp_lt_i64_e64 s2, s[12:13], 1
	s_delay_alu instid0(VALU_DEP_1)
	s_and_b32 vcc_lo, exec_lo, s2
	s_cbranch_vccnz .LBB32_57
; %bb.23:
	v_mul_f64 v[1:2], s[10:11], s[10:11]
	s_load_b32 s0, s[0:1], 0xfb4
	v_cmp_gt_u64_e64 s1, 0x10000, s[12:13]
	v_add_f64 v[34:35], -s[8:9], 1.0
	v_add_f64 v[36:37], -s[10:11], 0
	v_lshl_or_b32 v4, v0, 4, 8
	s_mov_b32 s15, 0
	s_delay_alu instid0(VALU_DEP_1) | instskip(NEXT) | instid1(VALU_DEP_1)
	v_add_co_u32 v42, s2, s20, v4
	v_add_co_ci_u32_e64 v43, null, s21, 0, s2
	s_waitcnt lgkmcnt(0)
	s_and_b32 s5, s0, 0xffff
	s_and_b32 s0, s1, exec_lo
	v_add_lshl_u32 v6, v0, s5, 4
	v_add_co_u32 v44, s1, s18, v4
	s_delay_alu instid0(VALU_DEP_1) | instskip(NEXT) | instid1(VALU_DEP_3)
	v_add_co_ci_u32_e64 v45, null, s19, 0, s1
	v_add_co_u32 v46, s1, s18, v6
	s_delay_alu instid0(VALU_DEP_1)
	v_add_co_ci_u32_e64 v47, null, s19, 0, s1
	v_add_co_u32 v50, s1, s20, v6
	s_cselect_b32 s17, s13, 0
	s_cselect_b32 s16, s12, 0x10000
	v_add_co_ci_u32_e64 v51, null, s21, 0, s1
	v_fma_f64 v[2:3], s[8:9], s[8:9], v[1:2]
	v_mov_b32_e32 v1, 0
	s_lshl_b32 s1, s5, 5
	s_lshl_b32 s14, s5, 2
	;; [unrolled: 1-line block ×3, first 2 shown]
	s_mul_i32 s23, s5, 3
	v_mov_b32_e32 v5, v1
	s_delay_alu instid0(VALU_DEP_3) | instskip(NEXT) | instid1(VALU_DEP_2)
	v_cmp_ngt_f64_e64 s0, 0x3fd00000, v[2:3]
	v_mad_u64_u32 v[2:3], null, s5, 48, v[4:5]
	v_add_co_u32 v4, s1, v4, s1
	s_delay_alu instid0(VALU_DEP_1) | instskip(NEXT) | instid1(VALU_DEP_3)
	v_add_co_ci_u32_e64 v5, null, 0, 0, s1
	v_add_co_u32 v48, vcc_lo, s20, v2
	s_delay_alu instid0(VALU_DEP_4)
	v_add_co_ci_u32_e32 v49, vcc_lo, s21, v3, vcc_lo
	v_add_co_u32 v52, vcc_lo, s18, v2
	v_add_co_ci_u32_e32 v53, vcc_lo, s19, v3, vcc_lo
	v_add_co_u32 v54, vcc_lo, s20, v4
	;; [unrolled: 2-line block ×3, first 2 shown]
	v_add_co_ci_u32_e32 v57, vcc_lo, s19, v5, vcc_lo
	s_lshl_b32 s20, s5, 6
	s_mov_b64 s[18:19], s[14:15]
	s_branch .LBB32_25
.LBB32_24:                              ;   in Loop: Header=BB32_25 Depth=1
	s_or_b32 exec_lo, exec_lo, s1
	v_add_co_u32 v0, vcc_lo, v0, s14
	v_add_co_ci_u32_e32 v1, vcc_lo, 0, v1, vcc_lo
	v_add_co_u32 v42, vcc_lo, v42, s20
	v_add_co_ci_u32_e32 v43, vcc_lo, 0, v43, vcc_lo
	;; [unrolled: 2-line block ×7, first 2 shown]
	v_cmp_ge_i64_e64 s1, s[18:19], s[12:13]
	v_cmp_lt_u64_e64 s2, 0xffff, s[18:19]
	v_add_co_u32 v54, vcc_lo, v54, s20
	v_add_co_ci_u32_e32 v55, vcc_lo, 0, v55, vcc_lo
	v_add_co_u32 v56, vcc_lo, v56, s20
	v_add_co_ci_u32_e32 v57, vcc_lo, 0, v57, vcc_lo
	s_or_b32 s1, s1, s2
	s_add_u32 s18, s18, s14
	s_addc_u32 s19, s19, 0
	s_and_b32 vcc_lo, exec_lo, s1
	s_cbranch_vccnz .LBB32_57
.LBB32_25:                              ; =>This Inner Loop Header: Depth=1
	v_mov_b32_e32 v4, 0
	v_mov_b32_e32 v5, 0
	v_cmp_gt_u64_e64 s1, s[16:17], v[0:1]
	s_delay_alu instid0(VALU_DEP_2)
	v_dual_mov_b32 v29, v5 :: v_dual_mov_b32 v28, v4
	v_dual_mov_b32 v27, v5 :: v_dual_mov_b32 v26, v4
	v_dual_mov_b32 v9, v5 :: v_dual_mov_b32 v8, v4
	v_dual_mov_b32 v7, v5 :: v_dual_mov_b32 v6, v4
	s_and_saveexec_b32 s2, s1
	s_cbranch_execz .LBB32_27
; %bb.26:                               ;   in Loop: Header=BB32_25 Depth=1
	v_add_co_u32 v2, vcc_lo, v44, s6
	v_add_co_ci_u32_e32 v3, vcc_lo, s7, v45, vcc_lo
	v_add_co_u32 v10, vcc_lo, v42, s6
	v_add_co_ci_u32_e32 v11, vcc_lo, s7, v43, vcc_lo
	global_load_b128 v[6:9], v[2:3], off offset:-8
	global_load_b128 v[26:29], v[10:11], off offset:-8
.LBB32_27:                              ;   in Loop: Header=BB32_25 Depth=1
	s_or_b32 exec_lo, exec_lo, s2
	v_add_co_u32 v10, vcc_lo, s5, v0
	v_add_co_ci_u32_e32 v11, vcc_lo, 0, v1, vcc_lo
	v_dual_mov_b32 v2, v4 :: v_dual_mov_b32 v3, v5
	v_dual_mov_b32 v13, v5 :: v_dual_mov_b32 v12, v4
	s_delay_alu instid0(VALU_DEP_3) | instskip(SKIP_1) | instid1(VALU_DEP_2)
	v_cmp_gt_u64_e64 s2, s[16:17], v[10:11]
	v_dual_mov_b32 v11, v5 :: v_dual_mov_b32 v10, v4
	s_and_saveexec_b32 s3, s2
	s_cbranch_execz .LBB32_29
; %bb.28:                               ;   in Loop: Header=BB32_25 Depth=1
	v_add_co_u32 v2, vcc_lo, v46, s6
	v_add_co_ci_u32_e32 v3, vcc_lo, s7, v47, vcc_lo
	v_add_co_u32 v4, vcc_lo, v50, s6
	v_add_co_ci_u32_e32 v5, vcc_lo, s7, v51, vcc_lo
	global_load_b128 v[10:13], v[2:3], off
	global_load_b128 v[2:5], v[4:5], off
.LBB32_29:                              ;   in Loop: Header=BB32_25 Depth=1
	s_or_b32 exec_lo, exec_lo, s3
	v_add_co_u32 v14, vcc_lo, s22, v0
	v_add_co_ci_u32_e32 v15, vcc_lo, 0, v1, vcc_lo
	v_mov_b32_e32 v16, 0
	v_mov_b32_e32 v17, 0
	s_delay_alu instid0(VALU_DEP_3) | instskip(NEXT) | instid1(VALU_DEP_2)
	v_cmp_gt_u64_e64 s3, s[16:17], v[14:15]
	v_dual_mov_b32 v33, v17 :: v_dual_mov_b32 v32, v16
	v_dual_mov_b32 v31, v17 :: v_dual_mov_b32 v30, v16
	;; [unrolled: 1-line block ×4, first 2 shown]
	s_and_saveexec_b32 s4, s3
	s_cbranch_execz .LBB32_31
; %bb.30:                               ;   in Loop: Header=BB32_25 Depth=1
	v_add_co_u32 v14, vcc_lo, v56, s6
	v_add_co_ci_u32_e32 v15, vcc_lo, s7, v57, vcc_lo
	v_add_co_u32 v22, vcc_lo, v54, s6
	v_add_co_ci_u32_e32 v23, vcc_lo, s7, v55, vcc_lo
	global_load_b128 v[18:21], v[14:15], off offset:-8
	global_load_b128 v[30:33], v[22:23], off offset:-8
.LBB32_31:                              ;   in Loop: Header=BB32_25 Depth=1
	s_or_b32 exec_lo, exec_lo, s4
	v_add_co_u32 v22, vcc_lo, s23, v0
	v_add_co_ci_u32_e32 v23, vcc_lo, 0, v1, vcc_lo
	v_dual_mov_b32 v14, v16 :: v_dual_mov_b32 v15, v17
	v_dual_mov_b32 v25, v17 :: v_dual_mov_b32 v24, v16
	s_delay_alu instid0(VALU_DEP_3) | instskip(SKIP_1) | instid1(VALU_DEP_2)
	v_cmp_gt_u64_e64 s4, s[16:17], v[22:23]
	v_dual_mov_b32 v23, v17 :: v_dual_mov_b32 v22, v16
	s_and_saveexec_b32 s15, s4
	s_cbranch_execz .LBB32_33
; %bb.32:                               ;   in Loop: Header=BB32_25 Depth=1
	v_add_co_u32 v14, vcc_lo, v52, s6
	v_add_co_ci_u32_e32 v15, vcc_lo, s7, v53, vcc_lo
	v_add_co_u32 v16, vcc_lo, v48, s6
	v_add_co_ci_u32_e32 v17, vcc_lo, s7, v49, vcc_lo
	global_load_b128 v[22:25], v[14:15], off offset:-8
	global_load_b128 v[14:17], v[16:17], off offset:-8
.LBB32_33:                              ;   in Loop: Header=BB32_25 Depth=1
	s_or_b32 exec_lo, exec_lo, s15
	s_waitcnt vmcnt(0)
	v_add_f64 v[38:39], v[26:27], -v[6:7]
	v_add_f64 v[40:41], v[28:29], -v[8:9]
	s_and_b32 vcc_lo, exec_lo, s0
	s_cbranch_vccz .LBB32_49
; %bb.34:                               ;   in Loop: Header=BB32_25 Depth=1
	s_delay_alu instid0(VALU_DEP_1) | instskip(NEXT) | instid1(VALU_DEP_3)
	v_mul_f64 v[58:59], v[36:37], v[40:41]
	v_mul_f64 v[60:61], v[36:37], v[38:39]
	s_delay_alu instid0(VALU_DEP_2) | instskip(NEXT) | instid1(VALU_DEP_2)
	v_fma_f64 v[58:59], v[34:35], v[38:39], -v[58:59]
	v_fma_f64 v[60:61], v[34:35], v[40:41], v[60:61]
	s_delay_alu instid0(VALU_DEP_2) | instskip(NEXT) | instid1(VALU_DEP_2)
	v_add_f64 v[26:27], v[26:27], -v[58:59]
	v_add_f64 v[28:29], v[28:29], -v[60:61]
	s_cbranch_execnz .LBB32_36
.LBB32_35:                              ;   in Loop: Header=BB32_25 Depth=1
	s_delay_alu instid0(VALU_DEP_1) | instskip(NEXT) | instid1(VALU_DEP_3)
	v_mul_f64 v[26:27], s[10:11], v[40:41]
	v_mul_f64 v[28:29], s[10:11], v[38:39]
	s_delay_alu instid0(VALU_DEP_2) | instskip(NEXT) | instid1(VALU_DEP_2)
	v_fma_f64 v[26:27], s[8:9], v[38:39], -v[26:27]
	v_fma_f64 v[28:29], s[8:9], v[40:41], v[28:29]
	s_delay_alu instid0(VALU_DEP_2) | instskip(NEXT) | instid1(VALU_DEP_2)
	v_add_f64 v[26:27], v[6:7], v[26:27]
	v_add_f64 v[28:29], v[8:9], v[28:29]
.LBB32_36:                              ;   in Loop: Header=BB32_25 Depth=1
	v_add_f64 v[6:7], v[2:3], -v[10:11]
	v_add_f64 v[8:9], v[4:5], -v[12:13]
	s_and_not1_b32 vcc_lo, exec_lo, s0
	s_cbranch_vccnz .LBB32_50
; %bb.37:                               ;   in Loop: Header=BB32_25 Depth=1
	s_delay_alu instid0(VALU_DEP_1) | instskip(NEXT) | instid1(VALU_DEP_3)
	v_mul_f64 v[38:39], v[36:37], v[8:9]
	v_mul_f64 v[40:41], v[36:37], v[6:7]
	s_delay_alu instid0(VALU_DEP_2) | instskip(NEXT) | instid1(VALU_DEP_2)
	v_fma_f64 v[38:39], v[34:35], v[6:7], -v[38:39]
	v_fma_f64 v[40:41], v[34:35], v[8:9], v[40:41]
	s_delay_alu instid0(VALU_DEP_2) | instskip(NEXT) | instid1(VALU_DEP_2)
	v_add_f64 v[2:3], v[2:3], -v[38:39]
	v_add_f64 v[4:5], v[4:5], -v[40:41]
	s_cbranch_execnz .LBB32_39
.LBB32_38:                              ;   in Loop: Header=BB32_25 Depth=1
	s_delay_alu instid0(VALU_DEP_1) | instskip(NEXT) | instid1(VALU_DEP_3)
	v_mul_f64 v[2:3], s[10:11], v[8:9]
	v_mul_f64 v[4:5], s[10:11], v[6:7]
	s_delay_alu instid0(VALU_DEP_2) | instskip(NEXT) | instid1(VALU_DEP_2)
	v_fma_f64 v[2:3], s[8:9], v[6:7], -v[2:3]
	v_fma_f64 v[4:5], s[8:9], v[8:9], v[4:5]
	s_delay_alu instid0(VALU_DEP_2) | instskip(NEXT) | instid1(VALU_DEP_2)
	v_add_f64 v[2:3], v[10:11], v[2:3]
	v_add_f64 v[4:5], v[12:13], v[4:5]
.LBB32_39:                              ;   in Loop: Header=BB32_25 Depth=1
	v_add_f64 v[10:11], v[30:31], -v[18:19]
	v_add_f64 v[12:13], v[32:33], -v[20:21]
	s_and_not1_b32 vcc_lo, exec_lo, s0
	s_cbranch_vccnz .LBB32_51
; %bb.40:                               ;   in Loop: Header=BB32_25 Depth=1
	s_delay_alu instid0(VALU_DEP_1) | instskip(NEXT) | instid1(VALU_DEP_3)
	v_mul_f64 v[6:7], v[36:37], v[12:13]
	v_mul_f64 v[8:9], v[36:37], v[10:11]
	s_delay_alu instid0(VALU_DEP_2) | instskip(NEXT) | instid1(VALU_DEP_2)
	v_fma_f64 v[6:7], v[34:35], v[10:11], -v[6:7]
	v_fma_f64 v[8:9], v[34:35], v[12:13], v[8:9]
	s_delay_alu instid0(VALU_DEP_2) | instskip(NEXT) | instid1(VALU_DEP_2)
	v_add_f64 v[6:7], v[30:31], -v[6:7]
	v_add_f64 v[8:9], v[32:33], -v[8:9]
	s_cbranch_execnz .LBB32_42
.LBB32_41:                              ;   in Loop: Header=BB32_25 Depth=1
	s_delay_alu instid0(VALU_DEP_1) | instskip(NEXT) | instid1(VALU_DEP_3)
	v_mul_f64 v[6:7], s[10:11], v[12:13]
	v_mul_f64 v[8:9], s[10:11], v[10:11]
	s_delay_alu instid0(VALU_DEP_2) | instskip(NEXT) | instid1(VALU_DEP_2)
	v_fma_f64 v[6:7], s[8:9], v[10:11], -v[6:7]
	v_fma_f64 v[8:9], s[8:9], v[12:13], v[8:9]
	s_delay_alu instid0(VALU_DEP_2) | instskip(NEXT) | instid1(VALU_DEP_2)
	v_add_f64 v[6:7], v[18:19], v[6:7]
	v_add_f64 v[8:9], v[20:21], v[8:9]
.LBB32_42:                              ;   in Loop: Header=BB32_25 Depth=1
	v_add_f64 v[18:19], v[14:15], -v[22:23]
	v_add_f64 v[20:21], v[16:17], -v[24:25]
	s_and_not1_b32 vcc_lo, exec_lo, s0
	s_cbranch_vccnz .LBB32_52
; %bb.43:                               ;   in Loop: Header=BB32_25 Depth=1
	s_delay_alu instid0(VALU_DEP_1) | instskip(NEXT) | instid1(VALU_DEP_3)
	v_mul_f64 v[10:11], v[36:37], v[20:21]
	v_mul_f64 v[12:13], v[36:37], v[18:19]
	s_delay_alu instid0(VALU_DEP_2) | instskip(NEXT) | instid1(VALU_DEP_2)
	v_fma_f64 v[10:11], v[34:35], v[18:19], -v[10:11]
	v_fma_f64 v[12:13], v[34:35], v[20:21], v[12:13]
	s_delay_alu instid0(VALU_DEP_2) | instskip(NEXT) | instid1(VALU_DEP_2)
	v_add_f64 v[10:11], v[14:15], -v[10:11]
	v_add_f64 v[12:13], v[16:17], -v[12:13]
	s_cbranch_execnz .LBB32_45
.LBB32_44:                              ;   in Loop: Header=BB32_25 Depth=1
	s_delay_alu instid0(VALU_DEP_1) | instskip(NEXT) | instid1(VALU_DEP_3)
	v_mul_f64 v[10:11], s[10:11], v[20:21]
	v_mul_f64 v[12:13], s[10:11], v[18:19]
	s_delay_alu instid0(VALU_DEP_2) | instskip(NEXT) | instid1(VALU_DEP_2)
	v_fma_f64 v[10:11], s[8:9], v[18:19], -v[10:11]
	v_fma_f64 v[12:13], s[8:9], v[20:21], v[12:13]
	s_delay_alu instid0(VALU_DEP_2) | instskip(NEXT) | instid1(VALU_DEP_2)
	v_add_f64 v[10:11], v[22:23], v[10:11]
	v_add_f64 v[12:13], v[24:25], v[12:13]
.LBB32_45:                              ;   in Loop: Header=BB32_25 Depth=1
	s_and_saveexec_b32 s15, s1
	s_delay_alu instid0(SALU_CYCLE_1)
	s_xor_b32 s1, exec_lo, s15
	s_cbranch_execnz .LBB32_53
; %bb.46:                               ;   in Loop: Header=BB32_25 Depth=1
	s_or_b32 exec_lo, exec_lo, s1
	s_and_saveexec_b32 s1, s2
	s_cbranch_execnz .LBB32_54
.LBB32_47:                              ;   in Loop: Header=BB32_25 Depth=1
	s_or_b32 exec_lo, exec_lo, s1
	s_and_saveexec_b32 s1, s3
	s_cbranch_execnz .LBB32_55
.LBB32_48:                              ;   in Loop: Header=BB32_25 Depth=1
	s_or_b32 exec_lo, exec_lo, s1
	s_and_saveexec_b32 s1, s4
	s_cbranch_execz .LBB32_24
	s_branch .LBB32_56
.LBB32_49:                              ;   in Loop: Header=BB32_25 Depth=1
                                        ; implicit-def: $vgpr28_vgpr29
	s_branch .LBB32_35
.LBB32_50:                              ;   in Loop: Header=BB32_25 Depth=1
                                        ; implicit-def: $vgpr4_vgpr5
	s_branch .LBB32_38
.LBB32_51:                              ;   in Loop: Header=BB32_25 Depth=1
                                        ; implicit-def: $vgpr8_vgpr9
	s_branch .LBB32_41
.LBB32_52:                              ;   in Loop: Header=BB32_25 Depth=1
                                        ; implicit-def: $vgpr12_vgpr13
	s_branch .LBB32_44
.LBB32_53:                              ;   in Loop: Header=BB32_25 Depth=1
	v_add_co_u32 v14, vcc_lo, v44, s6
	v_add_co_ci_u32_e32 v15, vcc_lo, s7, v45, vcc_lo
	global_store_b128 v[14:15], v[26:29], off offset:-8
	s_or_b32 exec_lo, exec_lo, s1
	s_and_saveexec_b32 s1, s2
	s_cbranch_execz .LBB32_47
.LBB32_54:                              ;   in Loop: Header=BB32_25 Depth=1
	v_add_co_u32 v14, vcc_lo, v46, s6
	v_add_co_ci_u32_e32 v15, vcc_lo, s7, v47, vcc_lo
	global_store_b128 v[14:15], v[2:5], off
	s_or_b32 exec_lo, exec_lo, s1
	s_and_saveexec_b32 s1, s3
	s_cbranch_execz .LBB32_48
.LBB32_55:                              ;   in Loop: Header=BB32_25 Depth=1
	v_add_co_u32 v2, vcc_lo, v56, s6
	v_add_co_ci_u32_e32 v3, vcc_lo, s7, v57, vcc_lo
	global_store_b128 v[2:3], v[6:9], off offset:-8
	s_or_b32 exec_lo, exec_lo, s1
	s_and_saveexec_b32 s1, s4
	s_cbranch_execz .LBB32_24
.LBB32_56:                              ;   in Loop: Header=BB32_25 Depth=1
	v_add_co_u32 v2, vcc_lo, v52, s6
	v_add_co_ci_u32_e32 v3, vcc_lo, s7, v53, vcc_lo
	global_store_b128 v[2:3], v[10:13], off offset:-8
	s_branch .LBB32_24
.LBB32_57:
	s_nop 0
	s_sendmsg sendmsg(MSG_DEALLOC_VGPRS)
	s_endpgm
	.section	.rodata,"a",@progbits
	.p2align	6, 0x0
	.amdhsa_kernel _ZN2at6native12_GLOBAL__N_125multi_tensor_apply_kernelINS1_28TensorListScalarListMetadataIN3c107complexIdEELi2EEENS1_26TernaryOpScalarListFunctorIS6_Li2ELi2ELi0EEEJNS0_11LerpFunctorIS6_EEEEEvT_T0_DpT1_
		.amdhsa_group_segment_fixed_size 0
		.amdhsa_private_segment_fixed_size 0
		.amdhsa_kernarg_size 4264
		.amdhsa_user_sgpr_count 15
		.amdhsa_user_sgpr_dispatch_ptr 0
		.amdhsa_user_sgpr_queue_ptr 0
		.amdhsa_user_sgpr_kernarg_segment_ptr 1
		.amdhsa_user_sgpr_dispatch_id 0
		.amdhsa_user_sgpr_private_segment_size 0
		.amdhsa_wavefront_size32 1
		.amdhsa_uses_dynamic_stack 0
		.amdhsa_enable_private_segment 0
		.amdhsa_system_sgpr_workgroup_id_x 1
		.amdhsa_system_sgpr_workgroup_id_y 0
		.amdhsa_system_sgpr_workgroup_id_z 0
		.amdhsa_system_sgpr_workgroup_info 0
		.amdhsa_system_vgpr_workitem_id 0
		.amdhsa_next_free_vgpr 62
		.amdhsa_next_free_sgpr 25
		.amdhsa_reserve_vcc 1
		.amdhsa_float_round_mode_32 0
		.amdhsa_float_round_mode_16_64 0
		.amdhsa_float_denorm_mode_32 3
		.amdhsa_float_denorm_mode_16_64 3
		.amdhsa_dx10_clamp 1
		.amdhsa_ieee_mode 1
		.amdhsa_fp16_overflow 0
		.amdhsa_workgroup_processor_mode 1
		.amdhsa_memory_ordered 1
		.amdhsa_forward_progress 0
		.amdhsa_shared_vgpr_count 0
		.amdhsa_exception_fp_ieee_invalid_op 0
		.amdhsa_exception_fp_denorm_src 0
		.amdhsa_exception_fp_ieee_div_zero 0
		.amdhsa_exception_fp_ieee_overflow 0
		.amdhsa_exception_fp_ieee_underflow 0
		.amdhsa_exception_fp_ieee_inexact 0
		.amdhsa_exception_int_div_zero 0
	.end_amdhsa_kernel
	.section	.text._ZN2at6native12_GLOBAL__N_125multi_tensor_apply_kernelINS1_28TensorListScalarListMetadataIN3c107complexIdEELi2EEENS1_26TernaryOpScalarListFunctorIS6_Li2ELi2ELi0EEEJNS0_11LerpFunctorIS6_EEEEEvT_T0_DpT1_,"axG",@progbits,_ZN2at6native12_GLOBAL__N_125multi_tensor_apply_kernelINS1_28TensorListScalarListMetadataIN3c107complexIdEELi2EEENS1_26TernaryOpScalarListFunctorIS6_Li2ELi2ELi0EEEJNS0_11LerpFunctorIS6_EEEEEvT_T0_DpT1_,comdat
.Lfunc_end32:
	.size	_ZN2at6native12_GLOBAL__N_125multi_tensor_apply_kernelINS1_28TensorListScalarListMetadataIN3c107complexIdEELi2EEENS1_26TernaryOpScalarListFunctorIS6_Li2ELi2ELi0EEEJNS0_11LerpFunctorIS6_EEEEEvT_T0_DpT1_, .Lfunc_end32-_ZN2at6native12_GLOBAL__N_125multi_tensor_apply_kernelINS1_28TensorListScalarListMetadataIN3c107complexIdEELi2EEENS1_26TernaryOpScalarListFunctorIS6_Li2ELi2ELi0EEEJNS0_11LerpFunctorIS6_EEEEEvT_T0_DpT1_
                                        ; -- End function
	.section	.AMDGPU.csdata,"",@progbits
; Kernel info:
; codeLenInByte = 2876
; NumSgprs: 27
; NumVgprs: 62
; ScratchSize: 0
; MemoryBound: 1
; FloatMode: 240
; IeeeMode: 1
; LDSByteSize: 0 bytes/workgroup (compile time only)
; SGPRBlocks: 3
; VGPRBlocks: 7
; NumSGPRsForWavesPerEU: 27
; NumVGPRsForWavesPerEU: 62
; Occupancy: 16
; WaveLimiterHint : 0
; COMPUTE_PGM_RSRC2:SCRATCH_EN: 0
; COMPUTE_PGM_RSRC2:USER_SGPR: 15
; COMPUTE_PGM_RSRC2:TRAP_HANDLER: 0
; COMPUTE_PGM_RSRC2:TGID_X_EN: 1
; COMPUTE_PGM_RSRC2:TGID_Y_EN: 0
; COMPUTE_PGM_RSRC2:TGID_Z_EN: 0
; COMPUTE_PGM_RSRC2:TIDIG_COMP_CNT: 0
	.section	.text._ZN2at6native12_GLOBAL__N_125multi_tensor_apply_kernelINS1_28TensorListScalarListMetadataIN3c107complexIfEELi2EEENS1_26TernaryOpScalarListFunctorIS6_Li2ELi2ELi0EEEJNS0_11LerpFunctorIS6_EEEEEvT_T0_DpT1_,"axG",@progbits,_ZN2at6native12_GLOBAL__N_125multi_tensor_apply_kernelINS1_28TensorListScalarListMetadataIN3c107complexIfEELi2EEENS1_26TernaryOpScalarListFunctorIS6_Li2ELi2ELi0EEEJNS0_11LerpFunctorIS6_EEEEEvT_T0_DpT1_,comdat
	.globl	_ZN2at6native12_GLOBAL__N_125multi_tensor_apply_kernelINS1_28TensorListScalarListMetadataIN3c107complexIfEELi2EEENS1_26TernaryOpScalarListFunctorIS6_Li2ELi2ELi0EEEJNS0_11LerpFunctorIS6_EEEEEvT_T0_DpT1_ ; -- Begin function _ZN2at6native12_GLOBAL__N_125multi_tensor_apply_kernelINS1_28TensorListScalarListMetadataIN3c107complexIfEELi2EEENS1_26TernaryOpScalarListFunctorIS6_Li2ELi2ELi0EEEJNS0_11LerpFunctorIS6_EEEEEvT_T0_DpT1_
	.p2align	8
	.type	_ZN2at6native12_GLOBAL__N_125multi_tensor_apply_kernelINS1_28TensorListScalarListMetadataIN3c107complexIfEELi2EEENS1_26TernaryOpScalarListFunctorIS6_Li2ELi2ELi0EEEJNS0_11LerpFunctorIS6_EEEEEvT_T0_DpT1_,@function
_ZN2at6native12_GLOBAL__N_125multi_tensor_apply_kernelINS1_28TensorListScalarListMetadataIN3c107complexIfEELi2EEENS1_26TernaryOpScalarListFunctorIS6_Li2ELi2ELi0EEEJNS0_11LerpFunctorIS6_EEEEEvT_T0_DpT1_: ; @_ZN2at6native12_GLOBAL__N_125multi_tensor_apply_kernelINS1_28TensorListScalarListMetadataIN3c107complexIfEELi2EEENS1_26TernaryOpScalarListFunctorIS6_Li2ELi2ELi0EEEJNS0_11LerpFunctorIS6_EEEEEvT_T0_DpT1_
; %bb.0:
	v_mov_b32_e32 v1, s15
	s_add_u32 s2, s0, s15
	s_mul_hi_u32 s3, s15, 3
	s_mul_i32 s15, s15, 3
	s_addc_u32 s4, s1, 0
	global_load_u8 v1, v1, s[0:1] offset:2048
	s_add_u32 s2, s2, s15
	s_addc_u32 s3, s4, s3
	s_mov_b32 s19, 0
	s_load_b32 s2, s[2:3], 0x940
	s_mov_b32 s21, s19
	s_mov_b32 s23, s19
	s_waitcnt vmcnt(0)
	v_readfirstlane_b32 s3, v1
	s_delay_alu instid0(VALU_DEP_1)
	s_lshl_b32 s3, s3, 3
	s_clause 0x3
	s_load_b64 s[4:5], s[0:1], s3 offset:0x0
	s_load_b64 s[6:7], s[0:1], s3 offset:0x600
	;; [unrolled: 1-line block ×4, first 2 shown]
	s_waitcnt lgkmcnt(0)
	s_ashr_i32 s3, s2, 31
	s_delay_alu instid0(SALU_CYCLE_1) | instskip(NEXT) | instid1(SALU_CYCLE_1)
	s_lshl_b64 s[8:9], s[2:3], 19
	s_add_u32 s12, s4, s8
	s_addc_u32 s13, s5, s9
	s_add_u32 s14, s16, s8
	s_addc_u32 s15, s17, s9
	s_and_b32 s20, s12, 31
	s_and_b32 s22, s10, 3
	;; [unrolled: 1-line block ×3, first 2 shown]
	s_or_b64 s[20:21], s[20:21], s[22:23]
	s_lshl_b64 s[2:3], s[2:3], 16
	s_or_b64 s[18:19], s[18:19], s[20:21]
	s_sub_u32 s10, s10, s2
	s_subb_u32 s11, s11, s3
	s_cmp_eq_u64 s[18:19], 0
	s_mov_b32 s2, -1
	s_cbranch_scc0 .LBB33_21
; %bb.1:
	v_dual_mov_b32 v18, 0 :: v_dual_lshlrev_b32 v17, 2, v0
	s_mov_b32 s18, exec_lo
	s_delay_alu instid0(VALU_DEP_1)
	v_cmpx_gt_i64_e64 s[10:11], v[17:18]
	s_cbranch_execz .LBB33_20
; %bb.2:
	s_load_b32 s2, s[0:1], 0xe54
	v_mul_f32_e64 v1, s7, s7
	v_sub_f32_e64 v21, 1.0, s6
	v_sub_f32_e64 v22, 0, s7
	v_lshlrev_b32_e32 v23, 5, v0
	s_mov_b32 s19, 0
	v_fmac_f32_e64 v1, s6, s6
	s_waitcnt lgkmcnt(0)
	s_and_b32 s3, s2, 0xffff
	s_delay_alu instid0(VALU_DEP_1)
	v_cmp_ngt_f32_e64 s2, 0x3e800000, v1
	v_add_lshl_u32 v17, v0, s3, 2
	s_lshl_b32 s20, s3, 2
	s_lshl_b32 s21, s3, 5
	s_branch .LBB33_4
.LBB33_3:                               ;   in Loop: Header=BB33_4 Depth=1
	v_cmp_le_i64_e32 vcc_lo, s[10:11], v[17:18]
	v_cmp_lt_u64_e64 s3, 0xffff, v[17:18]
	s_clause 0x1
	global_store_b128 v[19:20], v[1:4], off
	global_store_b128 v[19:20], v[9:12], off offset:16
	s_or_b32 s3, vcc_lo, s3
	s_add_u32 s12, s12, s21
	v_add_co_u32 v17, vcc_lo, v17, s20
	s_addc_u32 s13, s13, 0
	s_add_u32 s14, s14, s21
	v_add_co_ci_u32_e32 v18, vcc_lo, 0, v18, vcc_lo
	s_addc_u32 s15, s15, 0
	s_and_b32 s3, exec_lo, s3
	s_delay_alu instid0(SALU_CYCLE_1) | instskip(NEXT) | instid1(SALU_CYCLE_1)
	s_or_b32 s19, s3, s19
	s_and_not1_b32 exec_lo, exec_lo, s19
	s_cbranch_execz .LBB33_20
.LBB33_4:                               ; =>This Inner Loop Header: Depth=1
	v_add_co_u32 v19, s3, s12, v23
	s_delay_alu instid0(VALU_DEP_1) | instskip(SKIP_1) | instid1(VALU_DEP_1)
	v_add_co_ci_u32_e64 v20, null, s13, 0, s3
	v_add_co_u32 v9, s3, s14, v23
	v_add_co_ci_u32_e64 v10, null, s15, 0, s3
	global_load_b128 v[13:16], v[19:20], off
	global_load_b128 v[1:4], v[9:10], off
	global_load_b128 v[5:8], v[19:20], off offset:16
	global_load_b128 v[9:12], v[9:10], off offset:16
	s_and_b32 vcc_lo, exec_lo, s2
	s_waitcnt vmcnt(2)
	v_dual_sub_f32 v24, v1, v13 :: v_dual_sub_f32 v25, v2, v14
	s_cbranch_vccz .LBB33_6
; %bb.5:                                ;   in Loop: Header=BB33_4 Depth=1
	s_delay_alu instid0(VALU_DEP_1) | instskip(SKIP_1) | instid1(VALU_DEP_2)
	v_mul_f32_e32 v26, v22, v25
	v_mul_f32_e32 v27, v21, v25
	v_fma_f32 v26, v21, v24, -v26
	s_delay_alu instid0(VALU_DEP_2) | instskip(NEXT) | instid1(VALU_DEP_1)
	v_fmac_f32_e32 v27, v22, v24
	v_dual_sub_f32 v1, v1, v26 :: v_dual_sub_f32 v2, v2, v27
	s_cbranch_execz .LBB33_7
	s_branch .LBB33_8
.LBB33_6:                               ;   in Loop: Header=BB33_4 Depth=1
                                        ; implicit-def: $vgpr2
.LBB33_7:                               ;   in Loop: Header=BB33_4 Depth=1
	s_delay_alu instid0(VALU_DEP_1) | instskip(NEXT) | instid1(VALU_DEP_1)
	v_mul_f32_e32 v2, s6, v25
	v_dual_mul_f32 v1, s7, v25 :: v_dual_fmac_f32 v2, s7, v24
	s_delay_alu instid0(VALU_DEP_1) | instskip(NEXT) | instid1(VALU_DEP_1)
	v_fma_f32 v1, v24, s6, -v1
	v_dual_add_f32 v2, v14, v2 :: v_dual_add_f32 v1, v13, v1
.LBB33_8:                               ;   in Loop: Header=BB33_4 Depth=1
	v_dual_sub_f32 v13, v3, v15 :: v_dual_sub_f32 v14, v4, v16
	s_and_not1_b32 vcc_lo, exec_lo, s2
	s_cbranch_vccnz .LBB33_10
; %bb.9:                                ;   in Loop: Header=BB33_4 Depth=1
	s_delay_alu instid0(VALU_DEP_1) | instskip(SKIP_1) | instid1(VALU_DEP_2)
	v_mul_f32_e32 v24, v22, v14
	v_mul_f32_e32 v25, v21, v14
	v_fma_f32 v24, v21, v13, -v24
	s_delay_alu instid0(VALU_DEP_2) | instskip(NEXT) | instid1(VALU_DEP_1)
	v_fmac_f32_e32 v25, v22, v13
	v_dual_sub_f32 v3, v3, v24 :: v_dual_sub_f32 v4, v4, v25
	s_cbranch_execz .LBB33_11
	s_branch .LBB33_12
.LBB33_10:                              ;   in Loop: Header=BB33_4 Depth=1
.LBB33_11:                              ;   in Loop: Header=BB33_4 Depth=1
	s_delay_alu instid0(VALU_DEP_1) | instskip(NEXT) | instid1(VALU_DEP_1)
	v_mul_f32_e32 v4, s6, v14
	v_dual_mul_f32 v3, s7, v14 :: v_dual_fmac_f32 v4, s7, v13
	s_delay_alu instid0(VALU_DEP_1) | instskip(NEXT) | instid1(VALU_DEP_1)
	v_fma_f32 v3, v13, s6, -v3
	v_dual_add_f32 v4, v16, v4 :: v_dual_add_f32 v3, v15, v3
.LBB33_12:                              ;   in Loop: Header=BB33_4 Depth=1
	s_waitcnt vmcnt(0)
	v_dual_sub_f32 v13, v9, v5 :: v_dual_sub_f32 v14, v10, v6
	s_and_not1_b32 vcc_lo, exec_lo, s2
	s_cbranch_vccnz .LBB33_14
; %bb.13:                               ;   in Loop: Header=BB33_4 Depth=1
	s_delay_alu instid0(VALU_DEP_1) | instskip(SKIP_1) | instid1(VALU_DEP_2)
	v_mul_f32_e32 v15, v22, v14
	v_mul_f32_e32 v16, v21, v14
	v_fma_f32 v15, v21, v13, -v15
	s_delay_alu instid0(VALU_DEP_1) | instskip(NEXT) | instid1(VALU_DEP_1)
	v_dual_fmac_f32 v16, v22, v13 :: v_dual_sub_f32 v9, v9, v15
	v_sub_f32_e32 v10, v10, v16
	s_cbranch_execz .LBB33_15
	s_branch .LBB33_16
.LBB33_14:                              ;   in Loop: Header=BB33_4 Depth=1
                                        ; implicit-def: $vgpr10
.LBB33_15:                              ;   in Loop: Header=BB33_4 Depth=1
	s_delay_alu instid0(VALU_DEP_1) | instskip(NEXT) | instid1(VALU_DEP_1)
	v_mul_f32_e32 v10, s6, v14
	v_dual_mul_f32 v9, s7, v14 :: v_dual_fmac_f32 v10, s7, v13
	s_delay_alu instid0(VALU_DEP_1) | instskip(NEXT) | instid1(VALU_DEP_1)
	v_fma_f32 v9, v13, s6, -v9
	v_dual_add_f32 v10, v6, v10 :: v_dual_add_f32 v9, v5, v9
.LBB33_16:                              ;   in Loop: Header=BB33_4 Depth=1
	v_dual_sub_f32 v5, v11, v7 :: v_dual_sub_f32 v6, v12, v8
	s_and_not1_b32 vcc_lo, exec_lo, s2
	s_cbranch_vccnz .LBB33_18
; %bb.17:                               ;   in Loop: Header=BB33_4 Depth=1
	s_delay_alu instid0(VALU_DEP_1) | instskip(NEXT) | instid1(VALU_DEP_1)
	v_mul_f32_e32 v13, v22, v6
	v_fma_f32 v13, v21, v5, -v13
	s_delay_alu instid0(VALU_DEP_1) | instskip(NEXT) | instid1(VALU_DEP_1)
	v_dual_mul_f32 v14, v21, v6 :: v_dual_sub_f32 v11, v11, v13
	v_fmac_f32_e32 v14, v22, v5
	s_delay_alu instid0(VALU_DEP_1)
	v_sub_f32_e32 v12, v12, v14
	s_cbranch_execnz .LBB33_3
	s_branch .LBB33_19
.LBB33_18:                              ;   in Loop: Header=BB33_4 Depth=1
.LBB33_19:                              ;   in Loop: Header=BB33_4 Depth=1
	s_delay_alu instid0(VALU_DEP_1) | instskip(SKIP_1) | instid1(VALU_DEP_1)
	v_mul_f32_e32 v11, s7, v6
	v_mul_f32_e32 v6, s6, v6
	v_fmac_f32_e32 v6, s7, v5
	s_delay_alu instid0(VALU_DEP_3) | instskip(NEXT) | instid1(VALU_DEP_1)
	v_fma_f32 v11, v5, s6, -v11
	v_dual_add_f32 v12, v8, v6 :: v_dual_add_f32 v11, v7, v11
	s_branch .LBB33_3
.LBB33_20:
	s_or_b32 exec_lo, exec_lo, s18
	s_mov_b32 s2, 0
.LBB33_21:
	s_delay_alu instid0(SALU_CYCLE_1)
	s_and_not1_b32 vcc_lo, exec_lo, s2
	s_cbranch_vccnz .LBB33_57
; %bb.22:
	v_cmp_lt_i64_e64 s2, s[10:11], 1
	s_delay_alu instid0(VALU_DEP_1)
	s_and_b32 vcc_lo, exec_lo, s2
	s_cbranch_vccnz .LBB33_57
; %bb.23:
	s_load_b32 s1, s[0:1], 0xe54
	v_mov_b32_e32 v1, 0
	v_mul_f32_e64 v4, s7, s7
	v_lshl_or_b32 v2, v0, 3, 4
	v_cmp_gt_u64_e64 s2, 0x10000, s[10:11]
	v_sub_f32_e64 v18, 1.0, s6
	v_mov_b32_e32 v3, v1
	v_fmac_f32_e64 v4, s6, s6
	v_add_co_u32 v20, s0, s16, v2
	s_delay_alu instid0(VALU_DEP_1) | instskip(NEXT) | instid1(VALU_DEP_3)
	v_add_co_ci_u32_e64 v21, null, s17, 0, s0
	v_cmp_ngt_f32_e64 s0, 0x3e800000, v4
	v_sub_f32_e64 v19, 0, s7
	s_mov_b32 s13, 0
	s_waitcnt lgkmcnt(0)
	s_and_b32 s18, s1, 0xffff
	s_and_b32 s1, s2, exec_lo
	v_add_lshl_u32 v6, v0, s18, 3
	v_mad_u64_u32 v[4:5], null, s18, 24, v[2:3]
	v_add_co_u32 v22, s1, s4, v2
	s_delay_alu instid0(VALU_DEP_1) | instskip(NEXT) | instid1(VALU_DEP_4)
	v_add_co_ci_u32_e64 v23, null, s5, 0, s1
	v_add_co_u32 v24, s1, s4, v6
	s_delay_alu instid0(VALU_DEP_1)
	v_add_co_ci_u32_e64 v25, null, s5, 0, s1
	v_add_co_u32 v28, s1, s16, v6
	s_cselect_b32 s15, s11, 0
	s_cselect_b32 s14, s10, 0x10000
	v_add_co_ci_u32_e64 v29, null, s17, 0, s1
	s_lshl_b32 s1, s18, 4
	v_add_co_u32 v26, vcc_lo, s16, v4
	v_add_co_u32 v2, s1, v2, s1
	v_add_co_ci_u32_e32 v27, vcc_lo, s17, v5, vcc_lo
	v_add_co_ci_u32_e64 v3, null, 0, 0, s1
	v_add_co_u32 v30, vcc_lo, s4, v4
	v_add_co_ci_u32_e32 v31, vcc_lo, s5, v5, vcc_lo
	v_add_co_u32 v32, vcc_lo, s16, v2
	s_delay_alu instid0(VALU_DEP_4)
	v_add_co_ci_u32_e32 v33, vcc_lo, s17, v3, vcc_lo
	v_add_co_u32 v34, vcc_lo, s4, v2
	v_add_co_ci_u32_e32 v35, vcc_lo, s5, v3, vcc_lo
	s_lshl_b32 s12, s18, 2
	s_lshl_b32 s19, s18, 1
	s_mul_i32 s20, s18, 3
	s_lshl_b32 s5, s18, 5
	s_mov_b64 s[16:17], s[12:13]
	s_branch .LBB33_25
.LBB33_24:                              ;   in Loop: Header=BB33_25 Depth=1
	s_or_b32 exec_lo, exec_lo, s1
	v_add_co_u32 v0, vcc_lo, v0, s12
	v_add_co_ci_u32_e32 v1, vcc_lo, 0, v1, vcc_lo
	v_add_co_u32 v20, vcc_lo, v20, s5
	v_add_co_ci_u32_e32 v21, vcc_lo, 0, v21, vcc_lo
	v_add_co_u32 v22, vcc_lo, v22, s5
	v_add_co_ci_u32_e32 v23, vcc_lo, 0, v23, vcc_lo
	v_add_co_u32 v24, vcc_lo, v24, s5
	v_add_co_ci_u32_e32 v25, vcc_lo, 0, v25, vcc_lo
	v_add_co_u32 v26, vcc_lo, v26, s5
	v_add_co_ci_u32_e32 v27, vcc_lo, 0, v27, vcc_lo
	v_add_co_u32 v28, vcc_lo, v28, s5
	v_add_co_ci_u32_e32 v29, vcc_lo, 0, v29, vcc_lo
	v_add_co_u32 v30, vcc_lo, v30, s5
	v_add_co_ci_u32_e32 v31, vcc_lo, 0, v31, vcc_lo
	v_cmp_ge_i64_e64 s1, s[16:17], s[10:11]
	v_cmp_lt_u64_e64 s2, 0xffff, s[16:17]
	v_add_co_u32 v32, vcc_lo, v32, s5
	v_add_co_ci_u32_e32 v33, vcc_lo, 0, v33, vcc_lo
	v_add_co_u32 v34, vcc_lo, v34, s5
	v_add_co_ci_u32_e32 v35, vcc_lo, 0, v35, vcc_lo
	s_or_b32 s1, s1, s2
	s_add_u32 s16, s16, s12
	s_addc_u32 s17, s17, 0
	s_and_b32 vcc_lo, exec_lo, s1
	s_cbranch_vccnz .LBB33_57
.LBB33_25:                              ; =>This Inner Loop Header: Depth=1
	v_cmp_gt_u64_e64 s1, s[14:15], v[0:1]
	v_dual_mov_b32 v11, 0 :: v_dual_mov_b32 v10, 0
	v_dual_mov_b32 v13, 0 :: v_dual_mov_b32 v12, 0
	s_delay_alu instid0(VALU_DEP_3)
	s_and_saveexec_b32 s2, s1
	s_cbranch_execz .LBB33_27
; %bb.26:                               ;   in Loop: Header=BB33_25 Depth=1
	v_add_co_u32 v2, vcc_lo, v22, s8
	v_add_co_ci_u32_e32 v3, vcc_lo, s9, v23, vcc_lo
	v_add_co_u32 v4, vcc_lo, v20, s8
	v_add_co_ci_u32_e32 v5, vcc_lo, s9, v21, vcc_lo
	global_load_b64 v[12:13], v[2:3], off offset:-4
	global_load_b64 v[10:11], v[4:5], off offset:-4
.LBB33_27:                              ;   in Loop: Header=BB33_25 Depth=1
	s_or_b32 exec_lo, exec_lo, s2
	v_add_co_u32 v4, vcc_lo, s18, v0
	v_add_co_ci_u32_e32 v5, vcc_lo, 0, v1, vcc_lo
	v_dual_mov_b32 v3, 0 :: v_dual_mov_b32 v16, 0
	v_dual_mov_b32 v17, 0 :: v_dual_mov_b32 v8, 0
	s_delay_alu instid0(VALU_DEP_3) | instskip(SKIP_1) | instid1(VALU_DEP_2)
	v_cmp_gt_u64_e64 s2, s[14:15], v[4:5]
	v_mov_b32_e32 v9, 0
	s_and_saveexec_b32 s3, s2
	s_cbranch_execz .LBB33_29
; %bb.28:                               ;   in Loop: Header=BB33_25 Depth=1
	v_add_co_u32 v4, vcc_lo, v24, s8
	v_add_co_ci_u32_e32 v5, vcc_lo, s9, v25, vcc_lo
	v_add_co_u32 v6, vcc_lo, v28, s8
	v_add_co_ci_u32_e32 v7, vcc_lo, s9, v29, vcc_lo
	global_load_b64 v[8:9], v[4:5], off
	global_load_b64 v[16:17], v[6:7], off
.LBB33_29:                              ;   in Loop: Header=BB33_25 Depth=1
	s_or_b32 exec_lo, exec_lo, s3
	v_add_co_u32 v4, vcc_lo, s19, v0
	v_add_co_ci_u32_e32 v5, vcc_lo, 0, v1, vcc_lo
	v_dual_mov_b32 v2, 0 :: v_dual_mov_b32 v7, 0
	v_mov_b32_e32 v6, 0
	s_delay_alu instid0(VALU_DEP_3) | instskip(NEXT) | instid1(VALU_DEP_1)
	v_cmp_gt_u64_e64 s3, s[14:15], v[4:5]
	s_and_saveexec_b32 s4, s3
	s_cbranch_execz .LBB33_31
; %bb.30:                               ;   in Loop: Header=BB33_25 Depth=1
	v_add_co_u32 v2, vcc_lo, v34, s8
	v_add_co_ci_u32_e32 v3, vcc_lo, s9, v35, vcc_lo
	v_add_co_u32 v4, vcc_lo, v32, s8
	v_add_co_ci_u32_e32 v5, vcc_lo, s9, v33, vcc_lo
	global_load_b64 v[6:7], v[2:3], off offset:-4
	global_load_b64 v[2:3], v[4:5], off offset:-4
.LBB33_31:                              ;   in Loop: Header=BB33_25 Depth=1
	s_or_b32 exec_lo, exec_lo, s4
	v_add_co_u32 v4, vcc_lo, s20, v0
	v_add_co_ci_u32_e32 v5, vcc_lo, 0, v1, vcc_lo
	v_dual_mov_b32 v15, 0 :: v_dual_mov_b32 v14, 0
	s_delay_alu instid0(VALU_DEP_2) | instskip(SKIP_1) | instid1(VALU_DEP_2)
	v_cmp_gt_u64_e64 s4, s[14:15], v[4:5]
	v_dual_mov_b32 v5, 0 :: v_dual_mov_b32 v4, 0
	s_and_saveexec_b32 s13, s4
	s_cbranch_execz .LBB33_33
; %bb.32:                               ;   in Loop: Header=BB33_25 Depth=1
	v_add_co_u32 v4, vcc_lo, v30, s8
	v_add_co_ci_u32_e32 v5, vcc_lo, s9, v31, vcc_lo
	v_add_co_u32 v14, vcc_lo, v26, s8
	v_add_co_ci_u32_e32 v15, vcc_lo, s9, v27, vcc_lo
	global_load_b64 v[4:5], v[4:5], off offset:-4
	global_load_b64 v[14:15], v[14:15], off offset:-4
.LBB33_33:                              ;   in Loop: Header=BB33_25 Depth=1
	s_or_b32 exec_lo, exec_lo, s13
	s_waitcnt vmcnt(0)
	v_dual_sub_f32 v37, v10, v12 :: v_dual_sub_f32 v36, v11, v13
	s_and_b32 vcc_lo, exec_lo, s0
	s_cbranch_vccz .LBB33_49
; %bb.34:                               ;   in Loop: Header=BB33_25 Depth=1
	s_delay_alu instid0(VALU_DEP_1) | instskip(NEXT) | instid1(VALU_DEP_1)
	v_mul_f32_e32 v38, v19, v36
	v_fma_f32 v38, v18, v37, -v38
	s_delay_alu instid0(VALU_DEP_1) | instskip(NEXT) | instid1(VALU_DEP_1)
	v_dual_mul_f32 v39, v19, v37 :: v_dual_sub_f32 v10, v10, v38
	v_fmac_f32_e32 v39, v18, v36
	s_delay_alu instid0(VALU_DEP_1)
	v_sub_f32_e32 v11, v11, v39
	s_cbranch_execnz .LBB33_36
.LBB33_35:                              ;   in Loop: Header=BB33_25 Depth=1
	s_delay_alu instid0(VALU_DEP_1) | instskip(NEXT) | instid1(VALU_DEP_1)
	v_dual_mul_f32 v10, s7, v36 :: v_dual_mul_f32 v11, s7, v37
	v_fma_f32 v10, v37, s6, -v10
	s_delay_alu instid0(VALU_DEP_1) | instskip(NEXT) | instid1(VALU_DEP_1)
	v_dual_fmac_f32 v11, s6, v36 :: v_dual_add_f32 v10, v12, v10
	v_add_f32_e32 v11, v13, v11
.LBB33_36:                              ;   in Loop: Header=BB33_25 Depth=1
	v_dual_sub_f32 v37, v16, v8 :: v_dual_sub_f32 v36, v17, v9
	s_and_not1_b32 vcc_lo, exec_lo, s0
	s_cbranch_vccnz .LBB33_50
; %bb.37:                               ;   in Loop: Header=BB33_25 Depth=1
	s_delay_alu instid0(VALU_DEP_1) | instskip(NEXT) | instid1(VALU_DEP_1)
	v_mul_f32_e32 v13, v19, v37
	v_fmac_f32_e32 v13, v18, v36
	s_delay_alu instid0(VALU_DEP_1) | instskip(NEXT) | instid1(VALU_DEP_1)
	v_dual_mul_f32 v12, v19, v36 :: v_dual_sub_f32 v13, v17, v13
	v_fma_f32 v12, v18, v37, -v12
	s_delay_alu instid0(VALU_DEP_1)
	v_sub_f32_e32 v12, v16, v12
	s_cbranch_execnz .LBB33_39
.LBB33_38:                              ;   in Loop: Header=BB33_25 Depth=1
	s_delay_alu instid0(VALU_DEP_1) | instskip(NEXT) | instid1(VALU_DEP_1)
	v_dual_mul_f32 v12, s7, v36 :: v_dual_mul_f32 v13, s7, v37
	v_fma_f32 v12, v37, s6, -v12
	s_delay_alu instid0(VALU_DEP_2) | instskip(NEXT) | instid1(VALU_DEP_1)
	v_fmac_f32_e32 v13, s6, v36
	v_dual_add_f32 v12, v8, v12 :: v_dual_add_f32 v13, v9, v13
.LBB33_39:                              ;   in Loop: Header=BB33_25 Depth=1
	v_dual_sub_f32 v9, v2, v6 :: v_dual_sub_f32 v8, v3, v7
	s_and_not1_b32 vcc_lo, exec_lo, s0
	s_cbranch_vccnz .LBB33_51
; %bb.40:                               ;   in Loop: Header=BB33_25 Depth=1
	s_delay_alu instid0(VALU_DEP_1) | instskip(NEXT) | instid1(VALU_DEP_1)
	v_mul_f32_e32 v16, v19, v8
	v_fma_f32 v16, v18, v9, -v16
	s_delay_alu instid0(VALU_DEP_1) | instskip(NEXT) | instid1(VALU_DEP_1)
	v_dual_mul_f32 v17, v19, v9 :: v_dual_sub_f32 v2, v2, v16
	v_fmac_f32_e32 v17, v18, v8
	s_delay_alu instid0(VALU_DEP_1)
	v_sub_f32_e32 v3, v3, v17
	s_cbranch_execnz .LBB33_42
.LBB33_41:                              ;   in Loop: Header=BB33_25 Depth=1
	s_delay_alu instid0(VALU_DEP_1) | instskip(NEXT) | instid1(VALU_DEP_1)
	v_dual_mul_f32 v2, s7, v8 :: v_dual_mul_f32 v3, s7, v9
	v_fma_f32 v2, v9, s6, -v2
	s_delay_alu instid0(VALU_DEP_1) | instskip(NEXT) | instid1(VALU_DEP_1)
	v_dual_fmac_f32 v3, s6, v8 :: v_dual_add_f32 v2, v6, v2
	v_add_f32_e32 v3, v7, v3
.LBB33_42:                              ;   in Loop: Header=BB33_25 Depth=1
	v_dual_sub_f32 v9, v14, v4 :: v_dual_sub_f32 v8, v15, v5
	s_and_not1_b32 vcc_lo, exec_lo, s0
	s_cbranch_vccnz .LBB33_52
; %bb.43:                               ;   in Loop: Header=BB33_25 Depth=1
	s_delay_alu instid0(VALU_DEP_1) | instskip(NEXT) | instid1(VALU_DEP_1)
	v_mul_f32_e32 v6, v19, v8
	v_fma_f32 v6, v18, v9, -v6
	s_delay_alu instid0(VALU_DEP_1) | instskip(NEXT) | instid1(VALU_DEP_1)
	v_dual_mul_f32 v7, v19, v9 :: v_dual_sub_f32 v6, v14, v6
	v_fmac_f32_e32 v7, v18, v8
	s_delay_alu instid0(VALU_DEP_1)
	v_sub_f32_e32 v7, v15, v7
	s_cbranch_execnz .LBB33_45
.LBB33_44:                              ;   in Loop: Header=BB33_25 Depth=1
	s_delay_alu instid0(VALU_DEP_1) | instskip(NEXT) | instid1(VALU_DEP_1)
	v_dual_mul_f32 v6, s7, v8 :: v_dual_mul_f32 v7, s7, v9
	v_fma_f32 v6, v9, s6, -v6
	s_delay_alu instid0(VALU_DEP_1) | instskip(NEXT) | instid1(VALU_DEP_1)
	v_dual_fmac_f32 v7, s6, v8 :: v_dual_add_f32 v6, v4, v6
	v_add_f32_e32 v7, v5, v7
.LBB33_45:                              ;   in Loop: Header=BB33_25 Depth=1
	s_and_saveexec_b32 s13, s1
	s_delay_alu instid0(SALU_CYCLE_1)
	s_xor_b32 s1, exec_lo, s13
	s_cbranch_execnz .LBB33_53
; %bb.46:                               ;   in Loop: Header=BB33_25 Depth=1
	s_or_b32 exec_lo, exec_lo, s1
	s_and_saveexec_b32 s1, s2
	s_cbranch_execnz .LBB33_54
.LBB33_47:                              ;   in Loop: Header=BB33_25 Depth=1
	s_or_b32 exec_lo, exec_lo, s1
	s_and_saveexec_b32 s1, s3
	s_cbranch_execnz .LBB33_55
.LBB33_48:                              ;   in Loop: Header=BB33_25 Depth=1
	s_or_b32 exec_lo, exec_lo, s1
	s_and_saveexec_b32 s1, s4
	s_cbranch_execz .LBB33_24
	s_branch .LBB33_56
.LBB33_49:                              ;   in Loop: Header=BB33_25 Depth=1
                                        ; implicit-def: $vgpr11
	s_branch .LBB33_35
.LBB33_50:                              ;   in Loop: Header=BB33_25 Depth=1
                                        ; implicit-def: $vgpr13
	s_branch .LBB33_38
.LBB33_51:                              ;   in Loop: Header=BB33_25 Depth=1
                                        ; implicit-def: $vgpr3
	s_branch .LBB33_41
.LBB33_52:                              ;   in Loop: Header=BB33_25 Depth=1
                                        ; implicit-def: $vgpr7
	s_branch .LBB33_44
.LBB33_53:                              ;   in Loop: Header=BB33_25 Depth=1
	v_add_co_u32 v4, vcc_lo, v22, s8
	v_add_co_ci_u32_e32 v5, vcc_lo, s9, v23, vcc_lo
	global_store_b64 v[4:5], v[10:11], off offset:-4
	s_or_b32 exec_lo, exec_lo, s1
	s_and_saveexec_b32 s1, s2
	s_cbranch_execz .LBB33_47
.LBB33_54:                              ;   in Loop: Header=BB33_25 Depth=1
	v_add_co_u32 v4, vcc_lo, v24, s8
	v_add_co_ci_u32_e32 v5, vcc_lo, s9, v25, vcc_lo
	global_store_b64 v[4:5], v[12:13], off
	s_or_b32 exec_lo, exec_lo, s1
	s_and_saveexec_b32 s1, s3
	s_cbranch_execz .LBB33_48
.LBB33_55:                              ;   in Loop: Header=BB33_25 Depth=1
	v_add_co_u32 v4, vcc_lo, v34, s8
	v_add_co_ci_u32_e32 v5, vcc_lo, s9, v35, vcc_lo
	global_store_b64 v[4:5], v[2:3], off offset:-4
	s_or_b32 exec_lo, exec_lo, s1
	s_and_saveexec_b32 s1, s4
	s_cbranch_execz .LBB33_24
.LBB33_56:                              ;   in Loop: Header=BB33_25 Depth=1
	v_add_co_u32 v2, vcc_lo, v30, s8
	v_add_co_ci_u32_e32 v3, vcc_lo, s9, v31, vcc_lo
	global_store_b64 v[2:3], v[6:7], off offset:-4
	s_branch .LBB33_24
.LBB33_57:
	s_nop 0
	s_sendmsg sendmsg(MSG_DEALLOC_VGPRS)
	s_endpgm
	.section	.rodata,"a",@progbits
	.p2align	6, 0x0
	.amdhsa_kernel _ZN2at6native12_GLOBAL__N_125multi_tensor_apply_kernelINS1_28TensorListScalarListMetadataIN3c107complexIfEELi2EEENS1_26TernaryOpScalarListFunctorIS6_Li2ELi2ELi0EEEJNS0_11LerpFunctorIS6_EEEEEvT_T0_DpT1_
		.amdhsa_group_segment_fixed_size 0
		.amdhsa_private_segment_fixed_size 0
		.amdhsa_kernarg_size 3912
		.amdhsa_user_sgpr_count 15
		.amdhsa_user_sgpr_dispatch_ptr 0
		.amdhsa_user_sgpr_queue_ptr 0
		.amdhsa_user_sgpr_kernarg_segment_ptr 1
		.amdhsa_user_sgpr_dispatch_id 0
		.amdhsa_user_sgpr_private_segment_size 0
		.amdhsa_wavefront_size32 1
		.amdhsa_uses_dynamic_stack 0
		.amdhsa_enable_private_segment 0
		.amdhsa_system_sgpr_workgroup_id_x 1
		.amdhsa_system_sgpr_workgroup_id_y 0
		.amdhsa_system_sgpr_workgroup_id_z 0
		.amdhsa_system_sgpr_workgroup_info 0
		.amdhsa_system_vgpr_workitem_id 0
		.amdhsa_next_free_vgpr 40
		.amdhsa_next_free_sgpr 24
		.amdhsa_reserve_vcc 1
		.amdhsa_float_round_mode_32 0
		.amdhsa_float_round_mode_16_64 0
		.amdhsa_float_denorm_mode_32 3
		.amdhsa_float_denorm_mode_16_64 3
		.amdhsa_dx10_clamp 1
		.amdhsa_ieee_mode 1
		.amdhsa_fp16_overflow 0
		.amdhsa_workgroup_processor_mode 1
		.amdhsa_memory_ordered 1
		.amdhsa_forward_progress 0
		.amdhsa_shared_vgpr_count 0
		.amdhsa_exception_fp_ieee_invalid_op 0
		.amdhsa_exception_fp_denorm_src 0
		.amdhsa_exception_fp_ieee_div_zero 0
		.amdhsa_exception_fp_ieee_overflow 0
		.amdhsa_exception_fp_ieee_underflow 0
		.amdhsa_exception_fp_ieee_inexact 0
		.amdhsa_exception_int_div_zero 0
	.end_amdhsa_kernel
	.section	.text._ZN2at6native12_GLOBAL__N_125multi_tensor_apply_kernelINS1_28TensorListScalarListMetadataIN3c107complexIfEELi2EEENS1_26TernaryOpScalarListFunctorIS6_Li2ELi2ELi0EEEJNS0_11LerpFunctorIS6_EEEEEvT_T0_DpT1_,"axG",@progbits,_ZN2at6native12_GLOBAL__N_125multi_tensor_apply_kernelINS1_28TensorListScalarListMetadataIN3c107complexIfEELi2EEENS1_26TernaryOpScalarListFunctorIS6_Li2ELi2ELi0EEEJNS0_11LerpFunctorIS6_EEEEEvT_T0_DpT1_,comdat
.Lfunc_end33:
	.size	_ZN2at6native12_GLOBAL__N_125multi_tensor_apply_kernelINS1_28TensorListScalarListMetadataIN3c107complexIfEELi2EEENS1_26TernaryOpScalarListFunctorIS6_Li2ELi2ELi0EEEJNS0_11LerpFunctorIS6_EEEEEvT_T0_DpT1_, .Lfunc_end33-_ZN2at6native12_GLOBAL__N_125multi_tensor_apply_kernelINS1_28TensorListScalarListMetadataIN3c107complexIfEELi2EEENS1_26TernaryOpScalarListFunctorIS6_Li2ELi2ELi0EEEJNS0_11LerpFunctorIS6_EEEEEvT_T0_DpT1_
                                        ; -- End function
	.section	.AMDGPU.csdata,"",@progbits
; Kernel info:
; codeLenInByte = 2304
; NumSgprs: 26
; NumVgprs: 40
; ScratchSize: 0
; MemoryBound: 1
; FloatMode: 240
; IeeeMode: 1
; LDSByteSize: 0 bytes/workgroup (compile time only)
; SGPRBlocks: 3
; VGPRBlocks: 4
; NumSGPRsForWavesPerEU: 26
; NumVGPRsForWavesPerEU: 40
; Occupancy: 16
; WaveLimiterHint : 1
; COMPUTE_PGM_RSRC2:SCRATCH_EN: 0
; COMPUTE_PGM_RSRC2:USER_SGPR: 15
; COMPUTE_PGM_RSRC2:TRAP_HANDLER: 0
; COMPUTE_PGM_RSRC2:TGID_X_EN: 1
; COMPUTE_PGM_RSRC2:TGID_Y_EN: 0
; COMPUTE_PGM_RSRC2:TGID_Z_EN: 0
; COMPUTE_PGM_RSRC2:TIDIG_COMP_CNT: 0
	.section	.text._ZN2at6native12_GLOBAL__N_125multi_tensor_apply_kernelINS1_28TensorListScalarListMetadataIfLi2EEENS1_26TernaryOpScalarListFunctorIN3c104HalfELi2ELi2ELi0EEEJNS0_11LerpFunctorIfEEEEEvT_T0_DpT1_,"axG",@progbits,_ZN2at6native12_GLOBAL__N_125multi_tensor_apply_kernelINS1_28TensorListScalarListMetadataIfLi2EEENS1_26TernaryOpScalarListFunctorIN3c104HalfELi2ELi2ELi0EEEJNS0_11LerpFunctorIfEEEEEvT_T0_DpT1_,comdat
	.globl	_ZN2at6native12_GLOBAL__N_125multi_tensor_apply_kernelINS1_28TensorListScalarListMetadataIfLi2EEENS1_26TernaryOpScalarListFunctorIN3c104HalfELi2ELi2ELi0EEEJNS0_11LerpFunctorIfEEEEEvT_T0_DpT1_ ; -- Begin function _ZN2at6native12_GLOBAL__N_125multi_tensor_apply_kernelINS1_28TensorListScalarListMetadataIfLi2EEENS1_26TernaryOpScalarListFunctorIN3c104HalfELi2ELi2ELi0EEEJNS0_11LerpFunctorIfEEEEEvT_T0_DpT1_
	.p2align	8
	.type	_ZN2at6native12_GLOBAL__N_125multi_tensor_apply_kernelINS1_28TensorListScalarListMetadataIfLi2EEENS1_26TernaryOpScalarListFunctorIN3c104HalfELi2ELi2ELi0EEEJNS0_11LerpFunctorIfEEEEEvT_T0_DpT1_,@function
_ZN2at6native12_GLOBAL__N_125multi_tensor_apply_kernelINS1_28TensorListScalarListMetadataIfLi2EEENS1_26TernaryOpScalarListFunctorIN3c104HalfELi2ELi2ELi0EEEJNS0_11LerpFunctorIfEEEEEvT_T0_DpT1_: ; @_ZN2at6native12_GLOBAL__N_125multi_tensor_apply_kernelINS1_28TensorListScalarListMetadataIfLi2EEENS1_26TernaryOpScalarListFunctorIN3c104HalfELi2ELi2ELi0EEEJNS0_11LerpFunctorIfEEEEEvT_T0_DpT1_
; %bb.0:
	v_mov_b32_e32 v1, s15
	s_add_u32 s2, s0, s15
	s_mul_hi_u32 s3, s15, 3
	s_mul_i32 s15, s15, 3
	s_addc_u32 s4, s1, 0
	global_load_u8 v1, v1, s[0:1] offset:1792
	s_add_u32 s2, s2, s15
	s_addc_u32 s3, s4, s3
	s_mov_b32 s19, 0
	s_load_b32 s2, s[2:3], 0x840
	s_waitcnt vmcnt(0)
	v_readfirstlane_b32 s3, v1
	v_lshlrev_b32_e32 v1, 2, v1
	s_delay_alu instid0(VALU_DEP_2)
	s_lshl_b32 s4, s3, 3
	s_waitcnt lgkmcnt(0)
	s_ashr_i32 s3, s2, 31
	s_clause 0x2
	s_load_b64 s[8:9], s[0:1], s4 offset:0x400
	s_load_b64 s[14:15], s[0:1], s4 offset:0x0
	;; [unrolled: 1-line block ×3, first 2 shown]
	s_add_u32 s4, s0, s4
	s_addc_u32 s5, s1, 0
	v_sub_co_u32 v1, s4, s4, v1
	s_delay_alu instid0(VALU_DEP_1) | instskip(SKIP_1) | instid1(VALU_DEP_2)
	v_sub_co_ci_u32_e64 v2, null, s5, 0, s4
	s_lshl_b64 s[6:7], s[2:3], 17
	v_readfirstlane_b32 s4, v1
	s_delay_alu instid0(VALU_DEP_2)
	v_readfirstlane_b32 s5, v2
	s_load_b32 s5, s[4:5], 0x600
	s_waitcnt lgkmcnt(0)
	s_add_u32 s10, s14, s6
	s_addc_u32 s11, s15, s7
	s_and_b32 s4, s10, 7
	s_add_u32 s16, s12, s6
	s_addc_u32 s17, s13, s7
	s_and_b32 s18, s8, 3
	s_and_b32 s20, s16, 7
	s_or_b32 s4, s4, s18
	s_lshl_b64 s[2:3], s[2:3], 16
	s_or_b32 s18, s20, s4
	s_sub_u32 s8, s8, s2
	s_subb_u32 s9, s9, s3
	s_cmp_eq_u64 s[18:19], 0
	s_mov_b32 s2, -1
	s_cbranch_scc0 .LBB34_5
; %bb.1:
	v_dual_mov_b32 v2, 0 :: v_dual_lshlrev_b32 v1, 2, v0
	s_mov_b32 s18, exec_lo
	s_delay_alu instid0(VALU_DEP_1)
	v_cmpx_gt_i64_e64 s[8:9], v[1:2]
	s_cbranch_execz .LBB34_4
; %bb.2:
	s_load_b32 s2, s[0:1], 0xd54
	v_cmp_lt_f32_e64 vcc_lo, |s5|, 0.5
	v_sub_f32_e64 v3, 1.0, s5
	v_lshlrev_b32_e32 v4, 3, v0
	s_waitcnt lgkmcnt(0)
	s_and_b32 s2, s2, 0xffff
	s_delay_alu instid0(SALU_CYCLE_1)
	v_add_lshl_u32 v1, v0, s2, 2
	s_lshl_b32 s20, s2, 2
	s_lshl_b32 s21, s2, 3
.LBB34_3:                               ; =>This Inner Loop Header: Depth=1
	v_add_co_u32 v5, s2, s10, v4
	s_delay_alu instid0(VALU_DEP_1) | instskip(SKIP_1) | instid1(VALU_DEP_1)
	v_add_co_ci_u32_e64 v6, null, s11, 0, s2
	v_add_co_u32 v7, s2, s16, v4
	v_add_co_ci_u32_e64 v8, null, s17, 0, s2
	global_load_b64 v[9:10], v[5:6], off
	global_load_b64 v[7:8], v[7:8], off
	v_cmp_le_i64_e64 s2, s[8:9], v[1:2]
	v_cmp_lt_u64_e64 s3, 0xffff, v[1:2]
	v_add_co_u32 v1, s4, v1, s20
	s_delay_alu instid0(VALU_DEP_1) | instskip(NEXT) | instid1(VALU_DEP_3)
	v_add_co_ci_u32_e64 v2, s4, 0, v2, s4
	s_or_b32 s2, s2, s3
	s_add_u32 s10, s10, s21
	s_addc_u32 s11, s11, 0
	s_add_u32 s16, s16, s21
	s_addc_u32 s17, s17, 0
	s_and_b32 s2, exec_lo, s2
	s_delay_alu instid0(SALU_CYCLE_1)
	s_or_b32 s19, s2, s19
	s_waitcnt vmcnt(1)
	v_lshrrev_b32_e32 v11, 16, v9
	v_lshrrev_b32_e32 v12, 16, v10
	v_cvt_f32_f16_e32 v13, v9
	s_waitcnt vmcnt(0)
	v_cvt_f32_f16_e32 v14, v7
	v_lshrrev_b32_e32 v15, 16, v7
	v_lshrrev_b32_e32 v16, 16, v8
	v_cvt_f32_f16_e32 v17, v10
	v_cvt_f32_f16_e32 v18, v8
	;; [unrolled: 1-line block ×4, first 2 shown]
	v_sub_f32_e32 v13, v14, v13
	v_cvt_f32_f16_e32 v14, v15
	v_cvt_f32_f16_e32 v15, v16
	v_sub_f32_e32 v16, v18, v17
	s_delay_alu instid0(VALU_DEP_2) | instskip(NEXT) | instid1(VALU_DEP_2)
	v_sub_f32_e32 v12, v15, v12
	v_fma_mix_f32 v15, -v3, v16, v8 op_sel_hi:[0,0,1]
	v_sub_f32_e32 v11, v14, v11
	v_fma_mix_f32 v14, s5, v16, v10 op_sel_hi:[0,0,1]
	v_fma_mix_f32 v17, s5, v13, v9 op_sel_hi:[0,0,1]
	v_fma_mix_f32 v13, -v3, v13, v7 op_sel_hi:[0,0,1]
	v_fma_mix_f32 v10, s5, v12, v10 op_sel:[0,0,1] op_sel_hi:[0,0,1]
	v_fma_mix_f32 v8, -v3, v12, v8 op_sel:[0,0,1] op_sel_hi:[0,0,1]
	v_cndmask_b32_e32 v12, v15, v14, vcc_lo
	v_fma_mix_f32 v9, s5, v11, v9 op_sel:[0,0,1] op_sel_hi:[0,0,1]
	v_fma_mix_f32 v7, -v3, v11, v7 op_sel:[0,0,1] op_sel_hi:[0,0,1]
	s_delay_alu instid0(VALU_DEP_4) | instskip(NEXT) | instid1(VALU_DEP_4)
	v_dual_cndmask_b32 v11, v13, v17 :: v_dual_cndmask_b32 v8, v8, v10
	v_cvt_f16_f32_e32 v10, v12
	s_delay_alu instid0(VALU_DEP_3) | instskip(NEXT) | instid1(VALU_DEP_3)
	v_cndmask_b32_e32 v7, v7, v9, vcc_lo
	v_cvt_f16_f32_e32 v9, v11
	s_delay_alu instid0(VALU_DEP_4) | instskip(NEXT) | instid1(VALU_DEP_3)
	v_cvt_f16_f32_e32 v8, v8
	v_cvt_f16_f32_e32 v7, v7
	s_delay_alu instid0(VALU_DEP_2) | instskip(NEXT) | instid1(VALU_DEP_2)
	v_pack_b32_f16 v8, v10, v8
	v_pack_b32_f16 v7, v9, v7
	global_store_b64 v[5:6], v[7:8], off
	s_and_not1_b32 exec_lo, exec_lo, s19
	s_cbranch_execnz .LBB34_3
.LBB34_4:
	s_or_b32 exec_lo, exec_lo, s18
	s_mov_b32 s2, 0
.LBB34_5:
	s_delay_alu instid0(SALU_CYCLE_1)
	s_and_not1_b32 vcc_lo, exec_lo, s2
	s_cbranch_vccnz .LBB34_25
; %bb.6:
	v_cmp_lt_i64_e64 s2, s[8:9], 1
	s_delay_alu instid0(VALU_DEP_1)
	s_and_b32 vcc_lo, exec_lo, s2
	s_cbranch_vccnz .LBB34_25
; %bb.7:
	s_load_b32 s1, s[0:1], 0xd54
	v_dual_mov_b32 v11, 0 :: v_dual_lshlrev_b32 v10, 1, v0
	v_cmp_gt_u64_e64 s2, 0x10000, s[8:9]
	v_cmp_lt_f32_e64 s0, |s5|, 0.5
	v_sub_f32_e64 v1, 1.0, s5
	s_delay_alu instid0(VALU_DEP_4) | instskip(NEXT) | instid1(VALU_DEP_1)
	v_add_co_u32 v2, s3, s14, v10
	v_add_co_ci_u32_e64 v3, null, s15, 0, s3
	v_add_co_u32 v4, s3, s12, v10
	s_delay_alu instid0(VALU_DEP_1)
	v_add_co_ci_u32_e64 v5, null, s13, 0, s3
	s_waitcnt lgkmcnt(0)
	s_and_b32 s1, s1, 0xffff
	s_and_b32 s2, s2, exec_lo
	v_mad_u64_u32 v[8:9], null, s1, 6, v[10:11]
	s_cselect_b32 s11, s9, 0
	s_cselect_b32 s10, s8, 0x10000
	s_mul_i32 s3, s1, 3
	s_lshl_b32 s16, s1, 2
	s_lshl_b32 s2, s1, 1
	v_add_co_u32 v15, s4, s16, v10
	v_add_co_u32 v10, s3, s3, v0
	s_delay_alu instid0(VALU_DEP_1) | instskip(SKIP_3) | instid1(VALU_DEP_3)
	v_add_co_ci_u32_e64 v11, null, 0, 0, s3
	v_add_co_u32 v14, s3, v0, s1
	v_add_co_u32 v6, vcc_lo, s14, v8
	v_add_co_ci_u32_e32 v7, vcc_lo, s15, v9, vcc_lo
	v_lshlrev_b32_e32 v22, 1, v14
	v_add_co_u32 v8, vcc_lo, s12, v8
	v_add_co_ci_u32_e64 v16, null, 0, 0, s4
	v_add_co_ci_u32_e32 v9, vcc_lo, s13, v9, vcc_lo
	v_add_co_u32 v18, s2, s2, v0
	v_add_co_u32 v12, vcc_lo, s14, v15
	v_add_co_ci_u32_e64 v19, null, 0, 0, s2
	v_add_co_u32 v20, s2, s14, v22
	v_add_co_ci_u32_e32 v13, vcc_lo, s15, v16, vcc_lo
	v_add_co_u32 v15, vcc_lo, s12, v15
	v_add_co_ci_u32_e64 v21, null, s15, 0, s2
	v_add_co_u32 v22, s2, s12, v22
	v_add_co_ci_u32_e32 v16, vcc_lo, s13, v16, vcc_lo
	v_add_co_ci_u32_e64 v17, null, 0, 0, s3
	v_add_co_ci_u32_e64 v23, null, s13, 0, s2
	s_lshl_b32 s14, s1, 3
	s_mov_b64 s[12:13], 0
	s_branch .LBB34_9
.LBB34_8:                               ;   in Loop: Header=BB34_9 Depth=1
	s_or_b32 exec_lo, exec_lo, s1
	v_add_co_u32 v2, vcc_lo, v2, s14
	v_add_co_ci_u32_e32 v3, vcc_lo, 0, v3, vcc_lo
	v_add_co_u32 v4, vcc_lo, v4, s14
	v_add_co_ci_u32_e32 v5, vcc_lo, 0, v5, vcc_lo
	;; [unrolled: 2-line block ×5, first 2 shown]
	s_add_u32 s12, s12, s16
	v_add_co_u32 v15, vcc_lo, v15, s14
	s_addc_u32 s13, s13, 0
	v_add_co_ci_u32_e32 v16, vcc_lo, 0, v16, vcc_lo
	v_cmp_ge_i64_e64 s1, s[12:13], s[8:9]
	v_cmp_lt_u64_e64 s2, 0xffff, s[12:13]
	v_add_co_u32 v20, vcc_lo, v20, s14
	v_add_co_ci_u32_e32 v21, vcc_lo, 0, v21, vcc_lo
	v_add_co_u32 v22, vcc_lo, v22, s14
	v_add_co_ci_u32_e32 v23, vcc_lo, 0, v23, vcc_lo
	s_or_b32 s1, s1, s2
	s_delay_alu instid0(SALU_CYCLE_1)
	s_and_b32 vcc_lo, exec_lo, s1
	s_cbranch_vccnz .LBB34_25
.LBB34_9:                               ; =>This Inner Loop Header: Depth=1
	s_waitcnt vmcnt(1)
	v_add_co_u32 v24, s1, v0, s12
	s_delay_alu instid0(VALU_DEP_1) | instskip(SKIP_2) | instid1(VALU_DEP_2)
	v_add_co_ci_u32_e64 v25, null, 0, s13, s1
	s_waitcnt vmcnt(0)
	v_mov_b32_e32 v26, 0
	v_cmp_gt_u64_e32 vcc_lo, s[10:11], v[24:25]
	v_mov_b32_e32 v25, 0
	s_and_saveexec_b32 s2, vcc_lo
	s_cbranch_execz .LBB34_11
; %bb.10:                               ;   in Loop: Header=BB34_9 Depth=1
	v_add_co_u32 v24, s1, v2, s6
	s_delay_alu instid0(VALU_DEP_1) | instskip(SKIP_1) | instid1(VALU_DEP_1)
	v_add_co_ci_u32_e64 v25, s1, s7, v3, s1
	v_add_co_u32 v26, s1, v4, s6
	v_add_co_ci_u32_e64 v27, s1, s7, v5, s1
	global_load_u16 v25, v[24:25], off
	global_load_u16 v26, v[26:27], off
.LBB34_11:                              ;   in Loop: Header=BB34_9 Depth=1
	s_or_b32 exec_lo, exec_lo, s2
	v_add_co_u32 v27, s1, v14, s12
	s_delay_alu instid0(VALU_DEP_1) | instskip(SKIP_1) | instid1(VALU_DEP_2)
	v_add_co_ci_u32_e64 v28, s1, s13, v17, s1
	v_mov_b32_e32 v24, 0
	v_cmp_gt_u64_e64 s1, s[10:11], v[27:28]
	v_dual_mov_b32 v27, 0 :: v_dual_mov_b32 v28, 0
	s_delay_alu instid0(VALU_DEP_2)
	s_and_saveexec_b32 s3, s1
	s_cbranch_execz .LBB34_13
; %bb.12:                               ;   in Loop: Header=BB34_9 Depth=1
	v_add_co_u32 v27, s2, v20, s6
	s_delay_alu instid0(VALU_DEP_1) | instskip(SKIP_1) | instid1(VALU_DEP_1)
	v_add_co_ci_u32_e64 v28, s2, s7, v21, s2
	v_add_co_u32 v29, s2, v22, s6
	v_add_co_ci_u32_e64 v30, s2, s7, v23, s2
	global_load_u16 v27, v[27:28], off
	global_load_u16 v28, v[29:30], off
.LBB34_13:                              ;   in Loop: Header=BB34_9 Depth=1
	s_or_b32 exec_lo, exec_lo, s3
	v_add_co_u32 v29, s2, v18, s12
	s_delay_alu instid0(VALU_DEP_1) | instskip(NEXT) | instid1(VALU_DEP_1)
	v_add_co_ci_u32_e64 v30, s2, s13, v19, s2
	v_cmp_gt_u64_e64 s2, s[10:11], v[29:30]
	v_mov_b32_e32 v29, 0
	s_delay_alu instid0(VALU_DEP_2)
	s_and_saveexec_b32 s4, s2
	s_cbranch_execz .LBB34_15
; %bb.14:                               ;   in Loop: Header=BB34_9 Depth=1
	v_add_co_u32 v29, s3, v12, s6
	s_delay_alu instid0(VALU_DEP_1) | instskip(SKIP_1) | instid1(VALU_DEP_1)
	v_add_co_ci_u32_e64 v30, s3, s7, v13, s3
	v_add_co_u32 v31, s3, v15, s6
	v_add_co_ci_u32_e64 v32, s3, s7, v16, s3
	global_load_u16 v24, v[29:30], off
	global_load_u16 v29, v[31:32], off
.LBB34_15:                              ;   in Loop: Header=BB34_9 Depth=1
	s_or_b32 exec_lo, exec_lo, s4
	v_add_co_u32 v30, s3, v10, s12
	s_delay_alu instid0(VALU_DEP_1) | instskip(NEXT) | instid1(VALU_DEP_1)
	v_add_co_ci_u32_e64 v31, s3, s13, v11, s3
	v_cmp_gt_u64_e64 s3, s[10:11], v[30:31]
	v_dual_mov_b32 v30, 0 :: v_dual_mov_b32 v31, 0
	s_delay_alu instid0(VALU_DEP_2)
	s_and_saveexec_b32 s15, s3
	s_cbranch_execnz .LBB34_20
; %bb.16:                               ;   in Loop: Header=BB34_9 Depth=1
	s_or_b32 exec_lo, exec_lo, s15
	s_and_saveexec_b32 s4, vcc_lo
	s_cbranch_execnz .LBB34_21
.LBB34_17:                              ;   in Loop: Header=BB34_9 Depth=1
	s_or_b32 exec_lo, exec_lo, s4
	s_and_saveexec_b32 s4, s1
	s_cbranch_execnz .LBB34_22
.LBB34_18:                              ;   in Loop: Header=BB34_9 Depth=1
	s_or_b32 exec_lo, exec_lo, s4
	s_and_saveexec_b32 s1, s2
	s_cbranch_execnz .LBB34_23
.LBB34_19:                              ;   in Loop: Header=BB34_9 Depth=1
	s_or_b32 exec_lo, exec_lo, s1
	s_and_saveexec_b32 s1, s3
	s_cbranch_execz .LBB34_8
	s_branch .LBB34_24
.LBB34_20:                              ;   in Loop: Header=BB34_9 Depth=1
	v_add_co_u32 v30, s4, v6, s6
	s_delay_alu instid0(VALU_DEP_1) | instskip(SKIP_1) | instid1(VALU_DEP_1)
	v_add_co_ci_u32_e64 v31, s4, s7, v7, s4
	v_add_co_u32 v32, s4, v8, s6
	v_add_co_ci_u32_e64 v33, s4, s7, v9, s4
	global_load_u16 v30, v[30:31], off
	global_load_u16 v31, v[32:33], off
	s_or_b32 exec_lo, exec_lo, s15
	s_and_saveexec_b32 s4, vcc_lo
	s_cbranch_execz .LBB34_17
.LBB34_21:                              ;   in Loop: Header=BB34_9 Depth=1
	s_waitcnt vmcnt(0)
	v_cvt_f32_f16_e32 v32, v26
	v_cvt_f32_f16_e32 v33, v25
	s_delay_alu instid0(VALU_DEP_1) | instskip(NEXT) | instid1(VALU_DEP_1)
	v_sub_f32_e32 v32, v32, v33
	v_fma_mix_f32 v25, s5, v32, v25 op_sel_hi:[0,0,1]
	v_fma_mix_f32 v26, -v1, v32, v26 op_sel_hi:[0,0,1]
	s_delay_alu instid0(VALU_DEP_1) | instskip(NEXT) | instid1(VALU_DEP_1)
	v_cndmask_b32_e64 v25, v26, v25, s0
	v_cvt_f16_f32_e32 v32, v25
	v_add_co_u32 v25, vcc_lo, v2, s6
	v_add_co_ci_u32_e32 v26, vcc_lo, s7, v3, vcc_lo
	global_store_b16 v[25:26], v32, off
	s_or_b32 exec_lo, exec_lo, s4
	s_and_saveexec_b32 s4, s1
	s_cbranch_execz .LBB34_18
.LBB34_22:                              ;   in Loop: Header=BB34_9 Depth=1
	s_waitcnt vmcnt(1)
	v_cvt_f32_f16_e32 v25, v27
	s_waitcnt vmcnt(0)
	v_cvt_f32_f16_e32 v26, v28
	s_delay_alu instid0(VALU_DEP_1) | instskip(NEXT) | instid1(VALU_DEP_1)
	v_sub_f32_e32 v25, v26, v25
	v_fma_mix_f32 v26, s5, v25, v27 op_sel_hi:[0,0,1]
	v_fma_mix_f32 v25, -v1, v25, v28 op_sel_hi:[0,0,1]
	s_delay_alu instid0(VALU_DEP_1) | instskip(NEXT) | instid1(VALU_DEP_1)
	v_cndmask_b32_e64 v25, v25, v26, s0
	v_cvt_f16_f32_e32 v27, v25
	v_add_co_u32 v25, vcc_lo, v20, s6
	v_add_co_ci_u32_e32 v26, vcc_lo, s7, v21, vcc_lo
	global_store_b16 v[25:26], v27, off
	s_or_b32 exec_lo, exec_lo, s4
	s_and_saveexec_b32 s1, s2
	s_cbranch_execz .LBB34_19
.LBB34_23:                              ;   in Loop: Header=BB34_9 Depth=1
	s_waitcnt vmcnt(1)
	v_cvt_f32_f16_e32 v25, v24
	s_waitcnt vmcnt(0)
	v_cvt_f32_f16_e32 v26, v29
	s_delay_alu instid0(VALU_DEP_1) | instskip(NEXT) | instid1(VALU_DEP_1)
	v_sub_f32_e32 v25, v26, v25
	v_fma_mix_f32 v24, s5, v25, v24 op_sel_hi:[0,0,1]
	v_fma_mix_f32 v25, -v1, v25, v29 op_sel_hi:[0,0,1]
	s_delay_alu instid0(VALU_DEP_1) | instskip(NEXT) | instid1(VALU_DEP_1)
	v_cndmask_b32_e64 v24, v25, v24, s0
	v_cvt_f16_f32_e32 v26, v24
	v_add_co_u32 v24, vcc_lo, v12, s6
	v_add_co_ci_u32_e32 v25, vcc_lo, s7, v13, vcc_lo
	global_store_b16 v[24:25], v26, off
	s_or_b32 exec_lo, exec_lo, s1
	s_and_saveexec_b32 s1, s3
	s_cbranch_execz .LBB34_8
.LBB34_24:                              ;   in Loop: Header=BB34_9 Depth=1
	s_waitcnt vmcnt(1)
	v_cvt_f32_f16_e32 v24, v30
	s_waitcnt vmcnt(0)
	v_cvt_f32_f16_e32 v25, v31
	s_delay_alu instid0(VALU_DEP_1) | instskip(NEXT) | instid1(VALU_DEP_1)
	v_sub_f32_e32 v24, v25, v24
	v_fma_mix_f32 v25, s5, v24, v30 op_sel_hi:[0,0,1]
	v_fma_mix_f32 v24, -v1, v24, v31 op_sel_hi:[0,0,1]
	s_delay_alu instid0(VALU_DEP_1) | instskip(NEXT) | instid1(VALU_DEP_1)
	v_cndmask_b32_e64 v24, v24, v25, s0
	v_cvt_f16_f32_e32 v26, v24
	v_add_co_u32 v24, vcc_lo, v6, s6
	v_add_co_ci_u32_e32 v25, vcc_lo, s7, v7, vcc_lo
	global_store_b16 v[24:25], v26, off
	s_branch .LBB34_8
.LBB34_25:
	s_nop 0
	s_sendmsg sendmsg(MSG_DEALLOC_VGPRS)
	s_endpgm
	.section	.rodata,"a",@progbits
	.p2align	6, 0x0
	.amdhsa_kernel _ZN2at6native12_GLOBAL__N_125multi_tensor_apply_kernelINS1_28TensorListScalarListMetadataIfLi2EEENS1_26TernaryOpScalarListFunctorIN3c104HalfELi2ELi2ELi0EEEJNS0_11LerpFunctorIfEEEEEvT_T0_DpT1_
		.amdhsa_group_segment_fixed_size 0
		.amdhsa_private_segment_fixed_size 0
		.amdhsa_kernarg_size 3656
		.amdhsa_user_sgpr_count 15
		.amdhsa_user_sgpr_dispatch_ptr 0
		.amdhsa_user_sgpr_queue_ptr 0
		.amdhsa_user_sgpr_kernarg_segment_ptr 1
		.amdhsa_user_sgpr_dispatch_id 0
		.amdhsa_user_sgpr_private_segment_size 0
		.amdhsa_wavefront_size32 1
		.amdhsa_uses_dynamic_stack 0
		.amdhsa_enable_private_segment 0
		.amdhsa_system_sgpr_workgroup_id_x 1
		.amdhsa_system_sgpr_workgroup_id_y 0
		.amdhsa_system_sgpr_workgroup_id_z 0
		.amdhsa_system_sgpr_workgroup_info 0
		.amdhsa_system_vgpr_workitem_id 0
		.amdhsa_next_free_vgpr 34
		.amdhsa_next_free_sgpr 22
		.amdhsa_reserve_vcc 1
		.amdhsa_float_round_mode_32 0
		.amdhsa_float_round_mode_16_64 0
		.amdhsa_float_denorm_mode_32 3
		.amdhsa_float_denorm_mode_16_64 3
		.amdhsa_dx10_clamp 1
		.amdhsa_ieee_mode 1
		.amdhsa_fp16_overflow 0
		.amdhsa_workgroup_processor_mode 1
		.amdhsa_memory_ordered 1
		.amdhsa_forward_progress 0
		.amdhsa_shared_vgpr_count 0
		.amdhsa_exception_fp_ieee_invalid_op 0
		.amdhsa_exception_fp_denorm_src 0
		.amdhsa_exception_fp_ieee_div_zero 0
		.amdhsa_exception_fp_ieee_overflow 0
		.amdhsa_exception_fp_ieee_underflow 0
		.amdhsa_exception_fp_ieee_inexact 0
		.amdhsa_exception_int_div_zero 0
	.end_amdhsa_kernel
	.section	.text._ZN2at6native12_GLOBAL__N_125multi_tensor_apply_kernelINS1_28TensorListScalarListMetadataIfLi2EEENS1_26TernaryOpScalarListFunctorIN3c104HalfELi2ELi2ELi0EEEJNS0_11LerpFunctorIfEEEEEvT_T0_DpT1_,"axG",@progbits,_ZN2at6native12_GLOBAL__N_125multi_tensor_apply_kernelINS1_28TensorListScalarListMetadataIfLi2EEENS1_26TernaryOpScalarListFunctorIN3c104HalfELi2ELi2ELi0EEEJNS0_11LerpFunctorIfEEEEEvT_T0_DpT1_,comdat
.Lfunc_end34:
	.size	_ZN2at6native12_GLOBAL__N_125multi_tensor_apply_kernelINS1_28TensorListScalarListMetadataIfLi2EEENS1_26TernaryOpScalarListFunctorIN3c104HalfELi2ELi2ELi0EEEJNS0_11LerpFunctorIfEEEEEvT_T0_DpT1_, .Lfunc_end34-_ZN2at6native12_GLOBAL__N_125multi_tensor_apply_kernelINS1_28TensorListScalarListMetadataIfLi2EEENS1_26TernaryOpScalarListFunctorIN3c104HalfELi2ELi2ELi0EEEJNS0_11LerpFunctorIfEEEEEvT_T0_DpT1_
                                        ; -- End function
	.section	.AMDGPU.csdata,"",@progbits
; Kernel info:
; codeLenInByte = 1960
; NumSgprs: 24
; NumVgprs: 34
; ScratchSize: 0
; MemoryBound: 0
; FloatMode: 240
; IeeeMode: 1
; LDSByteSize: 0 bytes/workgroup (compile time only)
; SGPRBlocks: 2
; VGPRBlocks: 4
; NumSGPRsForWavesPerEU: 24
; NumVGPRsForWavesPerEU: 34
; Occupancy: 16
; WaveLimiterHint : 0
; COMPUTE_PGM_RSRC2:SCRATCH_EN: 0
; COMPUTE_PGM_RSRC2:USER_SGPR: 15
; COMPUTE_PGM_RSRC2:TRAP_HANDLER: 0
; COMPUTE_PGM_RSRC2:TGID_X_EN: 1
; COMPUTE_PGM_RSRC2:TGID_Y_EN: 0
; COMPUTE_PGM_RSRC2:TGID_Z_EN: 0
; COMPUTE_PGM_RSRC2:TIDIG_COMP_CNT: 0
	.section	.text._ZN2at6native12_GLOBAL__N_125multi_tensor_apply_kernelINS1_28TensorListScalarListMetadataIfLi2EEENS1_26TernaryOpScalarListFunctorIN3c108BFloat16ELi2ELi2ELi0EEEJNS0_11LerpFunctorIfEEEEEvT_T0_DpT1_,"axG",@progbits,_ZN2at6native12_GLOBAL__N_125multi_tensor_apply_kernelINS1_28TensorListScalarListMetadataIfLi2EEENS1_26TernaryOpScalarListFunctorIN3c108BFloat16ELi2ELi2ELi0EEEJNS0_11LerpFunctorIfEEEEEvT_T0_DpT1_,comdat
	.globl	_ZN2at6native12_GLOBAL__N_125multi_tensor_apply_kernelINS1_28TensorListScalarListMetadataIfLi2EEENS1_26TernaryOpScalarListFunctorIN3c108BFloat16ELi2ELi2ELi0EEEJNS0_11LerpFunctorIfEEEEEvT_T0_DpT1_ ; -- Begin function _ZN2at6native12_GLOBAL__N_125multi_tensor_apply_kernelINS1_28TensorListScalarListMetadataIfLi2EEENS1_26TernaryOpScalarListFunctorIN3c108BFloat16ELi2ELi2ELi0EEEJNS0_11LerpFunctorIfEEEEEvT_T0_DpT1_
	.p2align	8
	.type	_ZN2at6native12_GLOBAL__N_125multi_tensor_apply_kernelINS1_28TensorListScalarListMetadataIfLi2EEENS1_26TernaryOpScalarListFunctorIN3c108BFloat16ELi2ELi2ELi0EEEJNS0_11LerpFunctorIfEEEEEvT_T0_DpT1_,@function
_ZN2at6native12_GLOBAL__N_125multi_tensor_apply_kernelINS1_28TensorListScalarListMetadataIfLi2EEENS1_26TernaryOpScalarListFunctorIN3c108BFloat16ELi2ELi2ELi0EEEJNS0_11LerpFunctorIfEEEEEvT_T0_DpT1_: ; @_ZN2at6native12_GLOBAL__N_125multi_tensor_apply_kernelINS1_28TensorListScalarListMetadataIfLi2EEENS1_26TernaryOpScalarListFunctorIN3c108BFloat16ELi2ELi2ELi0EEEJNS0_11LerpFunctorIfEEEEEvT_T0_DpT1_
; %bb.0:
	v_mov_b32_e32 v1, s15
	s_add_u32 s2, s0, s15
	s_mul_hi_u32 s3, s15, 3
	s_mul_i32 s15, s15, 3
	s_addc_u32 s4, s1, 0
	global_load_u8 v1, v1, s[0:1] offset:1792
	s_add_u32 s2, s2, s15
	s_addc_u32 s3, s4, s3
	s_load_b32 s2, s[2:3], 0x840
	s_waitcnt vmcnt(0)
	v_readfirstlane_b32 s3, v1
	v_lshlrev_b32_e32 v1, 2, v1
	s_delay_alu instid0(VALU_DEP_2)
	s_lshl_b32 s6, s3, 3
	s_waitcnt lgkmcnt(0)
	s_ashr_i32 s3, s2, 31
	s_add_u32 s7, s0, s6
	s_addc_u32 s8, s1, 0
	v_sub_co_u32 v1, s7, s7, v1
	s_delay_alu instid0(VALU_DEP_1)
	v_sub_co_ci_u32_e64 v2, null, s8, 0, s7
	s_clause 0x2
	s_load_b64 s[4:5], s[0:1], s6 offset:0x400
	s_load_b64 s[14:15], s[0:1], s6 offset:0x200
	;; [unrolled: 1-line block ×3, first 2 shown]
	v_readfirstlane_b32 s6, v1
	v_readfirstlane_b32 s7, v2
	s_lshl_b64 s[8:9], s[2:3], 17
	s_lshl_b64 s[2:3], s[2:3], 16
	s_load_b32 s16, s[6:7], 0x600
	s_mov_b32 s7, 0
	s_waitcnt lgkmcnt(0)
	s_and_b32 s10, s4, 3
	s_and_b32 s11, s14, 7
	;; [unrolled: 1-line block ×3, first 2 shown]
	s_delay_alu instid0(SALU_CYCLE_1) | instskip(NEXT) | instid1(SALU_CYCLE_1)
	s_or_b32 s6, s6, s10
	s_or_b32 s6, s11, s6
	s_sub_u32 s10, s4, s2
	s_subb_u32 s11, s5, s3
	s_cmp_eq_u64 s[6:7], 0
	s_mov_b32 s2, -1
	s_cbranch_scc0 .LBB35_5
; %bb.1:
	v_dual_mov_b32 v2, 0 :: v_dual_lshlrev_b32 v1, 2, v0
	s_mov_b32 s7, exec_lo
	s_delay_alu instid0(VALU_DEP_1)
	v_cmpx_gt_i64_e64 s[10:11], v[1:2]
	s_cbranch_execz .LBB35_4
; %bb.2:
	s_load_b32 s2, s[0:1], 0xd54
	v_lshlrev_b32_e32 v1, 3, v0
	v_cmp_lt_f32_e64 vcc_lo, |s16|, 0.5
	v_sub_f32_e64 v3, 1.0, s16
	s_mov_b32 s17, 0
	s_delay_alu instid0(VALU_DEP_3) | instskip(NEXT) | instid1(VALU_DEP_1)
	v_add_co_u32 v4, s3, s8, v1
	v_add_co_ci_u32_e64 v5, null, s9, 0, s3
	s_waitcnt lgkmcnt(0)
	s_and_b32 s2, s2, 0xffff
	s_delay_alu instid0(SALU_CYCLE_1)
	v_add_lshl_u32 v1, v0, s2, 2
	s_lshl_b32 s18, s2, 3
	s_lshl_b32 s19, s2, 2
.LBB35_3:                               ; =>This Inner Loop Header: Depth=1
	v_add_co_u32 v6, s2, s12, v4
	s_delay_alu instid0(VALU_DEP_1) | instskip(SKIP_1) | instid1(VALU_DEP_1)
	v_add_co_ci_u32_e64 v7, s2, s13, v5, s2
	v_add_co_u32 v8, s2, s14, v4
	v_add_co_ci_u32_e64 v9, s2, s15, v5, s2
	v_cmp_le_i64_e64 s2, s[10:11], v[1:2]
	global_load_b64 v[10:11], v[6:7], off
	global_load_b64 v[8:9], v[8:9], off
	v_cmp_lt_u64_e64 s3, 0xffff, v[1:2]
	v_add_co_u32 v4, s4, v4, s18
	s_delay_alu instid0(VALU_DEP_1) | instskip(SKIP_1) | instid1(VALU_DEP_4)
	v_add_co_ci_u32_e64 v5, s4, 0, v5, s4
	v_add_co_u32 v1, s4, v1, s19
	s_or_b32 s2, s2, s3
	v_add_co_ci_u32_e64 v2, s4, 0, v2, s4
	s_and_b32 s2, exec_lo, s2
	s_delay_alu instid0(SALU_CYCLE_1)
	s_or_b32 s17, s2, s17
	s_waitcnt vmcnt(1)
	v_lshlrev_b32_e32 v12, 16, v10
	v_and_b32_e32 v14, 0xffff0000, v10
	s_waitcnt vmcnt(0)
	v_and_b32_e32 v15, 0xffff0000, v8
	v_alignbit_b32 v10, v11, v10, 16
	v_and_b32_e32 v11, 0xffff0000, v11
	v_lshlrev_b32_e32 v13, 16, v8
	v_alignbit_b32 v8, v9, v8, 16
	v_and_b32_e32 v9, 0xffff0000, v9
	v_sub_f32_e32 v17, v15, v14
	v_and_b32_e32 v10, 0xffff0000, v10
	s_delay_alu instid0(VALU_DEP_4) | instskip(NEXT) | instid1(VALU_DEP_4)
	v_and_b32_e32 v8, 0xffff0000, v8
	v_sub_f32_e32 v18, v9, v11
	s_delay_alu instid0(VALU_DEP_4) | instskip(SKIP_1) | instid1(VALU_DEP_3)
	v_fmac_f32_e32 v14, s16, v17
	v_fma_f32 v15, -v3, v17, v15
	v_fmac_f32_e32 v11, s16, v18
	v_fma_f32 v9, -v3, v18, v9
	s_delay_alu instid0(VALU_DEP_1) | instskip(SKIP_1) | instid1(VALU_DEP_1)
	v_cndmask_b32_e32 v9, v9, v11, vcc_lo
	v_sub_f32_e32 v16, v13, v12
	v_fmac_f32_e32 v12, s16, v16
	v_fma_f32 v13, -v3, v16, v13
	v_sub_f32_e32 v16, v8, v10
	s_delay_alu instid0(VALU_DEP_2) | instskip(NEXT) | instid1(VALU_DEP_2)
	v_dual_cndmask_b32 v12, v13, v12 :: v_dual_cndmask_b32 v13, v15, v14
	v_fmac_f32_e32 v10, s16, v16
	v_fma_f32 v8, -v3, v16, v8
	s_delay_alu instid0(VALU_DEP_3) | instskip(NEXT) | instid1(VALU_DEP_4)
	v_bfe_u32 v11, v12, 16, 1
	v_bfe_u32 v14, v13, 16, 1
	v_cmp_o_f32_e64 s5, v13, v13
	s_delay_alu instid0(VALU_DEP_4)
	v_cndmask_b32_e32 v8, v8, v10, vcc_lo
	v_bfe_u32 v10, v9, 16, 1
	v_add3_u32 v11, v12, v11, 0x7fff
	v_add3_u32 v14, v13, v14, 0x7fff
	v_cmp_o_f32_e64 s6, v12, v12
	v_bfe_u32 v15, v8, 16, 1
	v_add3_u32 v10, v9, v10, 0x7fff
	v_lshrrev_b32_e32 v11, 16, v11
	v_and_b32_e32 v14, 0xffff0000, v14
	s_delay_alu instid0(VALU_DEP_4) | instskip(NEXT) | instid1(VALU_DEP_4)
	v_add3_u32 v15, v8, v15, 0x7fff
	v_and_b32_e32 v10, 0xffff0000, v10
	s_delay_alu instid0(VALU_DEP_4) | instskip(NEXT) | instid1(VALU_DEP_4)
	v_cndmask_b32_e64 v11, 0x7fc0, v11, s6
	v_cndmask_b32_e64 v13, 0x7fc00000, v14, s5
	v_cmp_o_f32_e64 s5, v9, v9
	v_lshrrev_b32_e32 v12, 16, v15
	s_delay_alu instid0(VALU_DEP_2) | instskip(SKIP_2) | instid1(VALU_DEP_2)
	v_cndmask_b32_e64 v9, 0x7fc00000, v10, s5
	v_cmp_o_f32_e64 s5, v8, v8
	v_or_b32_e32 v10, v11, v13
	v_cndmask_b32_e64 v8, 0x7fc0, v12, s5
	s_delay_alu instid0(VALU_DEP_1) | instskip(NEXT) | instid1(VALU_DEP_3)
	v_or3_b32 v9, 0, v8, v9
	v_or3_b32 v8, v10, 0, 0
	global_store_b64 v[6:7], v[8:9], off
	s_and_not1_b32 exec_lo, exec_lo, s17
	s_cbranch_execnz .LBB35_3
.LBB35_4:
	s_or_b32 exec_lo, exec_lo, s7
	s_mov_b32 s2, 0
.LBB35_5:
	s_delay_alu instid0(SALU_CYCLE_1)
	s_and_not1_b32 vcc_lo, exec_lo, s2
	s_cbranch_vccnz .LBB35_25
; %bb.6:
	v_cmp_lt_i64_e64 s2, s[10:11], 1
	s_delay_alu instid0(VALU_DEP_1)
	s_and_b32 vcc_lo, exec_lo, s2
	s_cbranch_vccnz .LBB35_25
; %bb.7:
	s_load_b32 s1, s[0:1], 0xd54
	v_dual_mov_b32 v2, 0 :: v_dual_lshlrev_b32 v1, 1, v0
	v_cmp_gt_u64_e64 s2, 0x10000, s[10:11]
	v_cmp_lt_f32_e64 s0, |s16|, 0.5
	v_sub_f32_e64 v3, 1.0, s16
	s_delay_alu instid0(VALU_DEP_4) | instskip(NEXT) | instid1(VALU_DEP_1)
	v_add_co_u32 v4, s3, s12, v1
	v_add_co_ci_u32_e64 v5, null, s13, 0, s3
	v_add_co_u32 v6, s3, s14, v1
	s_delay_alu instid0(VALU_DEP_1)
	v_add_co_ci_u32_e64 v7, null, s15, 0, s3
	s_waitcnt lgkmcnt(0)
	s_and_b32 s1, s1, 0xffff
	s_and_b32 s2, s2, exec_lo
	v_mad_u64_u32 v[10:11], null, s1, 6, v[1:2]
	s_cselect_b32 s7, s11, 0
	s_cselect_b32 s6, s10, 0x10000
	s_lshl_b32 s5, s1, 2
	s_mul_i32 s3, s1, 3
	v_add_co_u32 v1, s4, s5, v1
	s_delay_alu instid0(VALU_DEP_2) | instskip(NEXT) | instid1(VALU_DEP_3)
	v_add_co_u32 v8, vcc_lo, s12, v10
	v_add_co_ci_u32_e32 v9, vcc_lo, s13, v11, vcc_lo
	v_add_co_u32 v12, s3, s3, v0
	v_add_co_u32 v10, vcc_lo, s14, v10
	v_add_co_ci_u32_e64 v2, null, 0, 0, s4
	v_add_co_ci_u32_e64 v13, null, 0, 0, s3
	v_add_co_u32 v16, s3, v0, s1
	v_add_co_ci_u32_e32 v11, vcc_lo, s15, v11, vcc_lo
	v_add_co_u32 v14, vcc_lo, s12, v1
	v_add_co_ci_u32_e32 v15, vcc_lo, s13, v2, vcc_lo
	v_add_co_u32 v17, vcc_lo, s14, v1
	v_lshlrev_b32_e32 v1, 1, v16
	s_lshl_b32 s2, s1, 1
	v_add_co_ci_u32_e32 v18, vcc_lo, s15, v2, vcc_lo
	v_add_co_u32 v20, s2, s2, v0
	s_delay_alu instid0(VALU_DEP_1) | instskip(SKIP_1) | instid1(VALU_DEP_1)
	v_add_co_ci_u32_e64 v21, null, 0, 0, s2
	v_add_co_u32 v22, s2, s12, v1
	v_add_co_ci_u32_e64 v23, null, s13, 0, s2
	v_add_co_u32 v24, s2, s14, v1
	v_add_co_ci_u32_e64 v19, null, 0, 0, s3
	v_add_co_ci_u32_e64 v25, null, s15, 0, s2
	s_mov_b32 s14, 0
	s_lshl_b32 s15, s1, 3
	s_mov_b64 s[12:13], 0
	s_branch .LBB35_9
.LBB35_8:                               ;   in Loop: Header=BB35_9 Depth=1
	s_or_b32 exec_lo, exec_lo, s1
	v_add_co_u32 v4, vcc_lo, v4, s15
	v_add_co_ci_u32_e32 v5, vcc_lo, 0, v5, vcc_lo
	v_add_co_u32 v6, vcc_lo, v6, s15
	v_add_co_ci_u32_e32 v7, vcc_lo, 0, v7, vcc_lo
	;; [unrolled: 2-line block ×5, first 2 shown]
	s_add_u32 s12, s12, s5
	v_add_co_u32 v17, vcc_lo, v17, s15
	s_addc_u32 s13, s13, 0
	v_add_co_ci_u32_e32 v18, vcc_lo, 0, v18, vcc_lo
	v_cmp_ge_i64_e64 s1, s[12:13], s[10:11]
	v_cmp_lt_u64_e64 s2, 0xffff, s[12:13]
	v_add_co_u32 v22, vcc_lo, v22, s15
	v_add_co_ci_u32_e32 v23, vcc_lo, 0, v23, vcc_lo
	v_add_co_u32 v24, vcc_lo, v24, s15
	v_add_co_ci_u32_e32 v25, vcc_lo, 0, v25, vcc_lo
	s_or_b32 s1, s1, s2
	s_delay_alu instid0(SALU_CYCLE_1)
	s_and_b32 vcc_lo, exec_lo, s1
	s_cbranch_vccnz .LBB35_25
.LBB35_9:                               ; =>This Inner Loop Header: Depth=1
	v_add_co_u32 v1, s1, v0, s12
	s_delay_alu instid0(VALU_DEP_1) | instskip(SKIP_2) | instid1(VALU_DEP_2)
	v_add_co_ci_u32_e64 v2, null, 0, s13, s1
	s_waitcnt vmcnt(0)
	v_mov_b32_e32 v27, 0
	v_cmp_gt_u64_e32 vcc_lo, s[6:7], v[1:2]
	v_mov_b32_e32 v1, 0
	v_mov_b32_e32 v2, 0
	s_and_saveexec_b32 s2, vcc_lo
	s_cbranch_execz .LBB35_11
; %bb.10:                               ;   in Loop: Header=BB35_9 Depth=1
	v_add_co_u32 v1, s1, v4, s8
	s_delay_alu instid0(VALU_DEP_1) | instskip(SKIP_2) | instid1(VALU_DEP_1)
	v_add_co_ci_u32_e64 v2, s1, s9, v5, s1
	global_load_u16 v26, v[1:2], off
	v_add_co_u32 v1, s1, v6, s8
	v_add_co_ci_u32_e64 v2, s1, s9, v7, s1
	global_load_u16 v27, v[1:2], off
	s_waitcnt vmcnt(1)
	v_dual_mov_b32 v2, s14 :: v_dual_and_b32 v1, 0xffff, v26
.LBB35_11:                              ;   in Loop: Header=BB35_9 Depth=1
	s_or_b32 exec_lo, exec_lo, s2
	v_add_co_u32 v28, s1, v16, s12
	s_delay_alu instid0(VALU_DEP_1) | instskip(SKIP_1) | instid1(VALU_DEP_2)
	v_add_co_ci_u32_e64 v29, s1, s13, v19, s1
	v_mov_b32_e32 v26, 0
	v_cmp_gt_u64_e64 s1, s[6:7], v[28:29]
	v_mov_b32_e32 v28, 0
	s_delay_alu instid0(VALU_DEP_2)
	s_and_saveexec_b32 s3, s1
	s_cbranch_execz .LBB35_13
; %bb.12:                               ;   in Loop: Header=BB35_9 Depth=1
	v_add_co_u32 v28, s2, v22, s8
	s_delay_alu instid0(VALU_DEP_1) | instskip(SKIP_2) | instid1(VALU_DEP_1)
	v_add_co_ci_u32_e64 v29, s2, s9, v23, s2
	global_load_u16 v30, v[28:29], off
	v_add_co_u32 v28, s2, v24, s8
	v_add_co_ci_u32_e64 v29, s2, s9, v25, s2
	global_load_u16 v28, v[28:29], off
	s_waitcnt vmcnt(1)
	v_lshl_or_b32 v1, v30, 16, v1
.LBB35_13:                              ;   in Loop: Header=BB35_9 Depth=1
	s_or_b32 exec_lo, exec_lo, s3
	v_add_co_u32 v29, s2, v20, s12
	s_delay_alu instid0(VALU_DEP_1) | instskip(NEXT) | instid1(VALU_DEP_1)
	v_add_co_ci_u32_e64 v30, s2, s13, v21, s2
	v_cmp_gt_u64_e64 s2, s[6:7], v[29:30]
	s_delay_alu instid0(VALU_DEP_1)
	s_and_saveexec_b32 s4, s2
	s_cbranch_execz .LBB35_15
; %bb.14:                               ;   in Loop: Header=BB35_9 Depth=1
	v_add_co_u32 v29, s3, v14, s8
	s_delay_alu instid0(VALU_DEP_1) | instskip(SKIP_2) | instid1(VALU_DEP_1)
	v_add_co_ci_u32_e64 v30, s3, s9, v15, s3
	global_load_u16 v31, v[29:30], off
	v_add_co_u32 v29, s3, v17, s8
	v_add_co_ci_u32_e64 v30, s3, s9, v18, s3
	global_load_u16 v26, v[29:30], off
	s_waitcnt vmcnt(1)
	v_or_b32_e32 v2, v31, v2
.LBB35_15:                              ;   in Loop: Header=BB35_9 Depth=1
	s_or_b32 exec_lo, exec_lo, s4
	v_add_co_u32 v29, s3, v12, s12
	s_delay_alu instid0(VALU_DEP_1) | instskip(NEXT) | instid1(VALU_DEP_1)
	v_add_co_ci_u32_e64 v30, s3, s13, v13, s3
	v_cmp_gt_u64_e64 s3, s[6:7], v[29:30]
	v_mov_b32_e32 v29, 0
	s_delay_alu instid0(VALU_DEP_2)
	s_and_saveexec_b32 s17, s3
	s_cbranch_execnz .LBB35_20
; %bb.16:                               ;   in Loop: Header=BB35_9 Depth=1
	s_or_b32 exec_lo, exec_lo, s17
	s_and_saveexec_b32 s4, vcc_lo
	s_cbranch_execnz .LBB35_21
.LBB35_17:                              ;   in Loop: Header=BB35_9 Depth=1
	s_or_b32 exec_lo, exec_lo, s4
	s_and_saveexec_b32 s4, s1
	s_cbranch_execnz .LBB35_22
.LBB35_18:                              ;   in Loop: Header=BB35_9 Depth=1
	s_or_b32 exec_lo, exec_lo, s4
	s_and_saveexec_b32 s1, s2
	s_cbranch_execnz .LBB35_23
.LBB35_19:                              ;   in Loop: Header=BB35_9 Depth=1
	s_or_b32 exec_lo, exec_lo, s1
	s_and_saveexec_b32 s1, s3
	s_cbranch_execz .LBB35_8
	s_branch .LBB35_24
.LBB35_20:                              ;   in Loop: Header=BB35_9 Depth=1
	v_add_co_u32 v29, s4, v8, s8
	s_delay_alu instid0(VALU_DEP_1) | instskip(SKIP_3) | instid1(VALU_DEP_1)
	v_add_co_ci_u32_e64 v30, s4, s9, v9, s4
	v_mov_b32_e32 v31, 0
	global_load_d16_hi_b16 v31, v[29:30], off
	v_add_co_u32 v29, s4, v10, s8
	v_add_co_ci_u32_e64 v30, s4, s9, v11, s4
	global_load_u16 v29, v[29:30], off
	s_waitcnt vmcnt(1)
	v_or_b32_e32 v2, v31, v2
	s_or_b32 exec_lo, exec_lo, s17
	s_and_saveexec_b32 s4, vcc_lo
	s_cbranch_execz .LBB35_17
.LBB35_21:                              ;   in Loop: Header=BB35_9 Depth=1
	s_waitcnt vmcnt(0)
	v_lshlrev_b32_e32 v27, 16, v27
	v_lshlrev_b32_e32 v30, 16, v1
	s_delay_alu instid0(VALU_DEP_1) | instskip(NEXT) | instid1(VALU_DEP_1)
	v_sub_f32_e32 v31, v27, v30
	v_fmac_f32_e32 v30, s16, v31
	v_fma_f32 v27, -v3, v31, v27
	s_delay_alu instid0(VALU_DEP_1) | instskip(NEXT) | instid1(VALU_DEP_1)
	v_cndmask_b32_e64 v27, v27, v30, s0
	v_bfe_u32 v30, v27, 16, 1
	s_delay_alu instid0(VALU_DEP_1) | instskip(NEXT) | instid1(VALU_DEP_1)
	v_add3_u32 v30, v27, v30, 0x7fff
	v_lshrrev_b32_e32 v32, 16, v30
	v_add_co_u32 v30, vcc_lo, v4, s8
	v_add_co_ci_u32_e32 v31, vcc_lo, s9, v5, vcc_lo
	v_cmp_o_f32_e32 vcc_lo, v27, v27
	s_delay_alu instid0(VALU_DEP_4)
	v_cndmask_b32_e32 v27, 0x7fc0, v32, vcc_lo
	global_store_b16 v[30:31], v27, off
	s_or_b32 exec_lo, exec_lo, s4
	s_and_saveexec_b32 s4, s1
	s_cbranch_execz .LBB35_18
.LBB35_22:                              ;   in Loop: Header=BB35_9 Depth=1
	s_waitcnt vmcnt(0)
	v_and_b32_e32 v27, 0xffff0000, v1
	v_lshlrev_b32_e32 v28, 16, v28
	s_delay_alu instid0(VALU_DEP_1) | instskip(NEXT) | instid1(VALU_DEP_1)
	v_sub_f32_e32 v30, v28, v27
	v_fmac_f32_e32 v27, s16, v30
	v_fma_f32 v28, -v3, v30, v28
	s_delay_alu instid0(VALU_DEP_1) | instskip(NEXT) | instid1(VALU_DEP_1)
	v_cndmask_b32_e64 v27, v28, v27, s0
	v_bfe_u32 v28, v27, 16, 1
	v_cmp_o_f32_e32 vcc_lo, v27, v27
	s_delay_alu instid0(VALU_DEP_2) | instskip(NEXT) | instid1(VALU_DEP_1)
	v_add3_u32 v28, v27, v28, 0x7fff
	v_lshrrev_b32_e32 v28, 16, v28
	s_delay_alu instid0(VALU_DEP_1)
	v_cndmask_b32_e32 v30, 0x7fc0, v28, vcc_lo
	v_add_co_u32 v27, vcc_lo, v22, s8
	v_add_co_ci_u32_e32 v28, vcc_lo, s9, v23, vcc_lo
	global_store_b16 v[27:28], v30, off
	s_or_b32 exec_lo, exec_lo, s4
	s_and_saveexec_b32 s1, s2
	s_cbranch_execz .LBB35_19
.LBB35_23:                              ;   in Loop: Header=BB35_9 Depth=1
	v_alignbit_b32 v1, v2, v1, 16
	s_delay_alu instid0(VALU_DEP_1) | instskip(SKIP_2) | instid1(VALU_DEP_1)
	v_and_b32_e32 v1, 0xffff0000, v1
	s_waitcnt vmcnt(0)
	v_lshlrev_b32_e32 v26, 16, v26
	v_sub_f32_e32 v27, v26, v1
	s_delay_alu instid0(VALU_DEP_1) | instskip(SKIP_1) | instid1(VALU_DEP_1)
	v_fmac_f32_e32 v1, s16, v27
	v_fma_f32 v26, -v3, v27, v26
	v_cndmask_b32_e64 v1, v26, v1, s0
	s_delay_alu instid0(VALU_DEP_1) | instskip(SKIP_1) | instid1(VALU_DEP_2)
	v_bfe_u32 v26, v1, 16, 1
	v_cmp_o_f32_e32 vcc_lo, v1, v1
	v_add3_u32 v26, v1, v26, 0x7fff
	s_delay_alu instid0(VALU_DEP_1) | instskip(NEXT) | instid1(VALU_DEP_1)
	v_lshrrev_b32_e32 v26, 16, v26
	v_cndmask_b32_e32 v1, 0x7fc0, v26, vcc_lo
	v_add_co_u32 v26, vcc_lo, v14, s8
	v_add_co_ci_u32_e32 v27, vcc_lo, s9, v15, vcc_lo
	global_store_b16 v[26:27], v1, off
	s_or_b32 exec_lo, exec_lo, s1
	s_and_saveexec_b32 s1, s3
	s_cbranch_execz .LBB35_8
.LBB35_24:                              ;   in Loop: Header=BB35_9 Depth=1
	v_and_b32_e32 v1, 0xffff0000, v2
	s_waitcnt vmcnt(0)
	v_lshlrev_b32_e32 v2, 16, v29
	s_delay_alu instid0(VALU_DEP_1) | instskip(NEXT) | instid1(VALU_DEP_1)
	v_sub_f32_e32 v26, v2, v1
	v_fmac_f32_e32 v1, s16, v26
	v_fma_f32 v2, -v3, v26, v2
	s_delay_alu instid0(VALU_DEP_1) | instskip(NEXT) | instid1(VALU_DEP_1)
	v_cndmask_b32_e64 v1, v2, v1, s0
	v_bfe_u32 v2, v1, 16, 1
	v_cmp_o_f32_e32 vcc_lo, v1, v1
	s_delay_alu instid0(VALU_DEP_2) | instskip(NEXT) | instid1(VALU_DEP_1)
	v_add3_u32 v2, v1, v2, 0x7fff
	v_lshrrev_b32_e32 v2, 16, v2
	s_delay_alu instid0(VALU_DEP_1)
	v_cndmask_b32_e32 v26, 0x7fc0, v2, vcc_lo
	v_add_co_u32 v1, vcc_lo, v8, s8
	v_add_co_ci_u32_e32 v2, vcc_lo, s9, v9, vcc_lo
	global_store_b16 v[1:2], v26, off
	s_branch .LBB35_8
.LBB35_25:
	s_nop 0
	s_sendmsg sendmsg(MSG_DEALLOC_VGPRS)
	s_endpgm
	.section	.rodata,"a",@progbits
	.p2align	6, 0x0
	.amdhsa_kernel _ZN2at6native12_GLOBAL__N_125multi_tensor_apply_kernelINS1_28TensorListScalarListMetadataIfLi2EEENS1_26TernaryOpScalarListFunctorIN3c108BFloat16ELi2ELi2ELi0EEEJNS0_11LerpFunctorIfEEEEEvT_T0_DpT1_
		.amdhsa_group_segment_fixed_size 0
		.amdhsa_private_segment_fixed_size 0
		.amdhsa_kernarg_size 3656
		.amdhsa_user_sgpr_count 15
		.amdhsa_user_sgpr_dispatch_ptr 0
		.amdhsa_user_sgpr_queue_ptr 0
		.amdhsa_user_sgpr_kernarg_segment_ptr 1
		.amdhsa_user_sgpr_dispatch_id 0
		.amdhsa_user_sgpr_private_segment_size 0
		.amdhsa_wavefront_size32 1
		.amdhsa_uses_dynamic_stack 0
		.amdhsa_enable_private_segment 0
		.amdhsa_system_sgpr_workgroup_id_x 1
		.amdhsa_system_sgpr_workgroup_id_y 0
		.amdhsa_system_sgpr_workgroup_id_z 0
		.amdhsa_system_sgpr_workgroup_info 0
		.amdhsa_system_vgpr_workitem_id 0
		.amdhsa_next_free_vgpr 33
		.amdhsa_next_free_sgpr 20
		.amdhsa_reserve_vcc 1
		.amdhsa_float_round_mode_32 0
		.amdhsa_float_round_mode_16_64 0
		.amdhsa_float_denorm_mode_32 3
		.amdhsa_float_denorm_mode_16_64 3
		.amdhsa_dx10_clamp 1
		.amdhsa_ieee_mode 1
		.amdhsa_fp16_overflow 0
		.amdhsa_workgroup_processor_mode 1
		.amdhsa_memory_ordered 1
		.amdhsa_forward_progress 0
		.amdhsa_shared_vgpr_count 0
		.amdhsa_exception_fp_ieee_invalid_op 0
		.amdhsa_exception_fp_denorm_src 0
		.amdhsa_exception_fp_ieee_div_zero 0
		.amdhsa_exception_fp_ieee_overflow 0
		.amdhsa_exception_fp_ieee_underflow 0
		.amdhsa_exception_fp_ieee_inexact 0
		.amdhsa_exception_int_div_zero 0
	.end_amdhsa_kernel
	.section	.text._ZN2at6native12_GLOBAL__N_125multi_tensor_apply_kernelINS1_28TensorListScalarListMetadataIfLi2EEENS1_26TernaryOpScalarListFunctorIN3c108BFloat16ELi2ELi2ELi0EEEJNS0_11LerpFunctorIfEEEEEvT_T0_DpT1_,"axG",@progbits,_ZN2at6native12_GLOBAL__N_125multi_tensor_apply_kernelINS1_28TensorListScalarListMetadataIfLi2EEENS1_26TernaryOpScalarListFunctorIN3c108BFloat16ELi2ELi2ELi0EEEJNS0_11LerpFunctorIfEEEEEvT_T0_DpT1_,comdat
.Lfunc_end35:
	.size	_ZN2at6native12_GLOBAL__N_125multi_tensor_apply_kernelINS1_28TensorListScalarListMetadataIfLi2EEENS1_26TernaryOpScalarListFunctorIN3c108BFloat16ELi2ELi2ELi0EEEJNS0_11LerpFunctorIfEEEEEvT_T0_DpT1_, .Lfunc_end35-_ZN2at6native12_GLOBAL__N_125multi_tensor_apply_kernelINS1_28TensorListScalarListMetadataIfLi2EEENS1_26TernaryOpScalarListFunctorIN3c108BFloat16ELi2ELi2ELi0EEEJNS0_11LerpFunctorIfEEEEEvT_T0_DpT1_
                                        ; -- End function
	.section	.AMDGPU.csdata,"",@progbits
; Kernel info:
; codeLenInByte = 2364
; NumSgprs: 22
; NumVgprs: 33
; ScratchSize: 0
; MemoryBound: 0
; FloatMode: 240
; IeeeMode: 1
; LDSByteSize: 0 bytes/workgroup (compile time only)
; SGPRBlocks: 2
; VGPRBlocks: 4
; NumSGPRsForWavesPerEU: 22
; NumVGPRsForWavesPerEU: 33
; Occupancy: 16
; WaveLimiterHint : 0
; COMPUTE_PGM_RSRC2:SCRATCH_EN: 0
; COMPUTE_PGM_RSRC2:USER_SGPR: 15
; COMPUTE_PGM_RSRC2:TRAP_HANDLER: 0
; COMPUTE_PGM_RSRC2:TGID_X_EN: 1
; COMPUTE_PGM_RSRC2:TGID_Y_EN: 0
; COMPUTE_PGM_RSRC2:TGID_Z_EN: 0
; COMPUTE_PGM_RSRC2:TIDIG_COMP_CNT: 0
	.text
	.p2alignl 7, 3214868480
	.fill 96, 4, 3214868480
	.type	__hip_cuid_8c8d6967705c297d,@object ; @__hip_cuid_8c8d6967705c297d
	.section	.bss,"aw",@nobits
	.globl	__hip_cuid_8c8d6967705c297d
__hip_cuid_8c8d6967705c297d:
	.byte	0                               ; 0x0
	.size	__hip_cuid_8c8d6967705c297d, 1

	.ident	"AMD clang version 19.0.0git (https://github.com/RadeonOpenCompute/llvm-project roc-6.4.0 25133 c7fe45cf4b819c5991fe208aaa96edf142730f1d)"
	.section	".note.GNU-stack","",@progbits
	.addrsig
	.addrsig_sym __hip_cuid_8c8d6967705c297d
	.amdgpu_metadata
---
amdhsa.kernels:
  - .args:
      - .offset:         0
        .size:           3048
        .value_kind:     by_value
      - .offset:         3048
        .size:           1
        .value_kind:     by_value
      - .offset:         3049
        .size:           1
        .value_kind:     by_value
      - .offset:         3056
        .size:           4
        .value_kind:     hidden_block_count_x
      - .offset:         3060
        .size:           4
        .value_kind:     hidden_block_count_y
      - .offset:         3064
        .size:           4
        .value_kind:     hidden_block_count_z
      - .offset:         3068
        .size:           2
        .value_kind:     hidden_group_size_x
      - .offset:         3070
        .size:           2
        .value_kind:     hidden_group_size_y
      - .offset:         3072
        .size:           2
        .value_kind:     hidden_group_size_z
      - .offset:         3074
        .size:           2
        .value_kind:     hidden_remainder_x
      - .offset:         3076
        .size:           2
        .value_kind:     hidden_remainder_y
      - .offset:         3078
        .size:           2
        .value_kind:     hidden_remainder_z
      - .offset:         3096
        .size:           8
        .value_kind:     hidden_global_offset_x
      - .offset:         3104
        .size:           8
        .value_kind:     hidden_global_offset_y
      - .offset:         3112
        .size:           8
        .value_kind:     hidden_global_offset_z
      - .offset:         3120
        .size:           2
        .value_kind:     hidden_grid_dims
    .group_segment_fixed_size: 0
    .kernarg_segment_align: 8
    .kernarg_segment_size: 3312
    .language:       OpenCL C
    .language_version:
      - 2
      - 0
    .max_flat_workgroup_size: 512
    .name:           _ZN2at6native12_GLOBAL__N_125multi_tensor_apply_kernelINS1_18TensorListMetadataILi4EEENS1_20TernaryOpListFunctorIdLi4ELi3ELi3EEEJNS0_11LerpFunctorIdEEEEEvT_T0_DpT1_
    .private_segment_fixed_size: 0
    .sgpr_count:     32
    .sgpr_spill_count: 0
    .symbol:         _ZN2at6native12_GLOBAL__N_125multi_tensor_apply_kernelINS1_18TensorListMetadataILi4EEENS1_20TernaryOpListFunctorIdLi4ELi3ELi3EEEJNS0_11LerpFunctorIdEEEEEvT_T0_DpT1_.kd
    .uniform_work_group_size: 1
    .uses_dynamic_stack: false
    .vgpr_count:     67
    .vgpr_spill_count: 0
    .wavefront_size: 32
    .workgroup_processor_mode: 1
  - .args:
      - .offset:         0
        .size:           3048
        .value_kind:     by_value
      - .offset:         3048
        .size:           1
        .value_kind:     by_value
      - .offset:         3049
        .size:           1
        .value_kind:     by_value
      - .offset:         3056
        .size:           4
        .value_kind:     hidden_block_count_x
      - .offset:         3060
        .size:           4
        .value_kind:     hidden_block_count_y
      - .offset:         3064
        .size:           4
        .value_kind:     hidden_block_count_z
      - .offset:         3068
        .size:           2
        .value_kind:     hidden_group_size_x
      - .offset:         3070
        .size:           2
        .value_kind:     hidden_group_size_y
      - .offset:         3072
        .size:           2
        .value_kind:     hidden_group_size_z
      - .offset:         3074
        .size:           2
        .value_kind:     hidden_remainder_x
      - .offset:         3076
        .size:           2
        .value_kind:     hidden_remainder_y
      - .offset:         3078
        .size:           2
        .value_kind:     hidden_remainder_z
      - .offset:         3096
        .size:           8
        .value_kind:     hidden_global_offset_x
      - .offset:         3104
        .size:           8
        .value_kind:     hidden_global_offset_y
      - .offset:         3112
        .size:           8
        .value_kind:     hidden_global_offset_z
      - .offset:         3120
        .size:           2
        .value_kind:     hidden_grid_dims
    .group_segment_fixed_size: 0
    .kernarg_segment_align: 8
    .kernarg_segment_size: 3312
    .language:       OpenCL C
    .language_version:
      - 2
      - 0
    .max_flat_workgroup_size: 512
    .name:           _ZN2at6native12_GLOBAL__N_125multi_tensor_apply_kernelINS1_18TensorListMetadataILi4EEENS1_20TernaryOpListFunctorIfLi4ELi3ELi3EEEJNS0_11LerpFunctorIfEEEEEvT_T0_DpT1_
    .private_segment_fixed_size: 0
    .sgpr_count:     34
    .sgpr_spill_count: 0
    .symbol:         _ZN2at6native12_GLOBAL__N_125multi_tensor_apply_kernelINS1_18TensorListMetadataILi4EEENS1_20TernaryOpListFunctorIfLi4ELi3ELi3EEEJNS0_11LerpFunctorIfEEEEEvT_T0_DpT1_.kd
    .uniform_work_group_size: 1
    .uses_dynamic_stack: false
    .vgpr_count:     53
    .vgpr_spill_count: 0
    .wavefront_size: 32
    .workgroup_processor_mode: 1
  - .args:
      - .offset:         0
        .size:           3048
        .value_kind:     by_value
      - .offset:         3048
        .size:           1
        .value_kind:     by_value
      - .offset:         3049
        .size:           1
        .value_kind:     by_value
      - .offset:         3056
        .size:           4
        .value_kind:     hidden_block_count_x
      - .offset:         3060
        .size:           4
        .value_kind:     hidden_block_count_y
      - .offset:         3064
        .size:           4
        .value_kind:     hidden_block_count_z
      - .offset:         3068
        .size:           2
        .value_kind:     hidden_group_size_x
      - .offset:         3070
        .size:           2
        .value_kind:     hidden_group_size_y
      - .offset:         3072
        .size:           2
        .value_kind:     hidden_group_size_z
      - .offset:         3074
        .size:           2
        .value_kind:     hidden_remainder_x
      - .offset:         3076
        .size:           2
        .value_kind:     hidden_remainder_y
      - .offset:         3078
        .size:           2
        .value_kind:     hidden_remainder_z
      - .offset:         3096
        .size:           8
        .value_kind:     hidden_global_offset_x
      - .offset:         3104
        .size:           8
        .value_kind:     hidden_global_offset_y
      - .offset:         3112
        .size:           8
        .value_kind:     hidden_global_offset_z
      - .offset:         3120
        .size:           2
        .value_kind:     hidden_grid_dims
    .group_segment_fixed_size: 0
    .kernarg_segment_align: 8
    .kernarg_segment_size: 3312
    .language:       OpenCL C
    .language_version:
      - 2
      - 0
    .max_flat_workgroup_size: 512
    .name:           _ZN2at6native12_GLOBAL__N_125multi_tensor_apply_kernelINS1_18TensorListMetadataILi4EEENS1_20TernaryOpListFunctorIN3c107complexIdEELi4ELi3ELi3EEEJNS0_11LerpFunctorIS8_EEEEEvT_T0_DpT1_
    .private_segment_fixed_size: 0
    .sgpr_count:     32
    .sgpr_spill_count: 0
    .symbol:         _ZN2at6native12_GLOBAL__N_125multi_tensor_apply_kernelINS1_18TensorListMetadataILi4EEENS1_20TernaryOpListFunctorIN3c107complexIdEELi4ELi3ELi3EEEJNS0_11LerpFunctorIS8_EEEEEvT_T0_DpT1_.kd
    .uniform_work_group_size: 1
    .uses_dynamic_stack: false
    .vgpr_count:     90
    .vgpr_spill_count: 0
    .wavefront_size: 32
    .workgroup_processor_mode: 1
  - .args:
      - .offset:         0
        .size:           3048
        .value_kind:     by_value
      - .offset:         3048
        .size:           1
        .value_kind:     by_value
      - .offset:         3049
        .size:           1
        .value_kind:     by_value
      - .offset:         3056
        .size:           4
        .value_kind:     hidden_block_count_x
      - .offset:         3060
        .size:           4
        .value_kind:     hidden_block_count_y
      - .offset:         3064
        .size:           4
        .value_kind:     hidden_block_count_z
      - .offset:         3068
        .size:           2
        .value_kind:     hidden_group_size_x
      - .offset:         3070
        .size:           2
        .value_kind:     hidden_group_size_y
      - .offset:         3072
        .size:           2
        .value_kind:     hidden_group_size_z
      - .offset:         3074
        .size:           2
        .value_kind:     hidden_remainder_x
      - .offset:         3076
        .size:           2
        .value_kind:     hidden_remainder_y
      - .offset:         3078
        .size:           2
        .value_kind:     hidden_remainder_z
      - .offset:         3096
        .size:           8
        .value_kind:     hidden_global_offset_x
      - .offset:         3104
        .size:           8
        .value_kind:     hidden_global_offset_y
      - .offset:         3112
        .size:           8
        .value_kind:     hidden_global_offset_z
      - .offset:         3120
        .size:           2
        .value_kind:     hidden_grid_dims
    .group_segment_fixed_size: 0
    .kernarg_segment_align: 8
    .kernarg_segment_size: 3312
    .language:       OpenCL C
    .language_version:
      - 2
      - 0
    .max_flat_workgroup_size: 512
    .name:           _ZN2at6native12_GLOBAL__N_125multi_tensor_apply_kernelINS1_18TensorListMetadataILi4EEENS1_20TernaryOpListFunctorIN3c107complexIfEELi4ELi3ELi3EEEJNS0_11LerpFunctorIS8_EEEEEvT_T0_DpT1_
    .private_segment_fixed_size: 0
    .sgpr_count:     32
    .sgpr_spill_count: 0
    .symbol:         _ZN2at6native12_GLOBAL__N_125multi_tensor_apply_kernelINS1_18TensorListMetadataILi4EEENS1_20TernaryOpListFunctorIN3c107complexIfEELi4ELi3ELi3EEEJNS0_11LerpFunctorIS8_EEEEEvT_T0_DpT1_.kd
    .uniform_work_group_size: 1
    .uses_dynamic_stack: false
    .vgpr_count:     62
    .vgpr_spill_count: 0
    .wavefront_size: 32
    .workgroup_processor_mode: 1
  - .args:
      - .offset:         0
        .size:           3048
        .value_kind:     by_value
      - .offset:         3048
        .size:           1
        .value_kind:     by_value
      - .offset:         3049
        .size:           1
        .value_kind:     by_value
      - .offset:         3056
        .size:           4
        .value_kind:     hidden_block_count_x
      - .offset:         3060
        .size:           4
        .value_kind:     hidden_block_count_y
      - .offset:         3064
        .size:           4
        .value_kind:     hidden_block_count_z
      - .offset:         3068
        .size:           2
        .value_kind:     hidden_group_size_x
      - .offset:         3070
        .size:           2
        .value_kind:     hidden_group_size_y
      - .offset:         3072
        .size:           2
        .value_kind:     hidden_group_size_z
      - .offset:         3074
        .size:           2
        .value_kind:     hidden_remainder_x
      - .offset:         3076
        .size:           2
        .value_kind:     hidden_remainder_y
      - .offset:         3078
        .size:           2
        .value_kind:     hidden_remainder_z
      - .offset:         3096
        .size:           8
        .value_kind:     hidden_global_offset_x
      - .offset:         3104
        .size:           8
        .value_kind:     hidden_global_offset_y
      - .offset:         3112
        .size:           8
        .value_kind:     hidden_global_offset_z
      - .offset:         3120
        .size:           2
        .value_kind:     hidden_grid_dims
    .group_segment_fixed_size: 0
    .kernarg_segment_align: 8
    .kernarg_segment_size: 3312
    .language:       OpenCL C
    .language_version:
      - 2
      - 0
    .max_flat_workgroup_size: 512
    .name:           _ZN2at6native12_GLOBAL__N_125multi_tensor_apply_kernelINS1_18TensorListMetadataILi4EEENS1_20TernaryOpListFunctorIN3c104HalfELi4ELi3ELi3EEEJNS0_11LerpFunctorIfEEEEEvT_T0_DpT1_
    .private_segment_fixed_size: 0
    .sgpr_count:     33
    .sgpr_spill_count: 0
    .symbol:         _ZN2at6native12_GLOBAL__N_125multi_tensor_apply_kernelINS1_18TensorListMetadataILi4EEENS1_20TernaryOpListFunctorIN3c104HalfELi4ELi3ELi3EEEJNS0_11LerpFunctorIfEEEEEvT_T0_DpT1_.kd
    .uniform_work_group_size: 1
    .uses_dynamic_stack: false
    .vgpr_count:     54
    .vgpr_spill_count: 0
    .wavefront_size: 32
    .workgroup_processor_mode: 1
  - .args:
      - .offset:         0
        .size:           3048
        .value_kind:     by_value
      - .offset:         3048
        .size:           1
        .value_kind:     by_value
      - .offset:         3049
        .size:           1
        .value_kind:     by_value
      - .offset:         3056
        .size:           4
        .value_kind:     hidden_block_count_x
      - .offset:         3060
        .size:           4
        .value_kind:     hidden_block_count_y
      - .offset:         3064
        .size:           4
        .value_kind:     hidden_block_count_z
      - .offset:         3068
        .size:           2
        .value_kind:     hidden_group_size_x
      - .offset:         3070
        .size:           2
        .value_kind:     hidden_group_size_y
      - .offset:         3072
        .size:           2
        .value_kind:     hidden_group_size_z
      - .offset:         3074
        .size:           2
        .value_kind:     hidden_remainder_x
      - .offset:         3076
        .size:           2
        .value_kind:     hidden_remainder_y
      - .offset:         3078
        .size:           2
        .value_kind:     hidden_remainder_z
      - .offset:         3096
        .size:           8
        .value_kind:     hidden_global_offset_x
      - .offset:         3104
        .size:           8
        .value_kind:     hidden_global_offset_y
      - .offset:         3112
        .size:           8
        .value_kind:     hidden_global_offset_z
      - .offset:         3120
        .size:           2
        .value_kind:     hidden_grid_dims
    .group_segment_fixed_size: 0
    .kernarg_segment_align: 8
    .kernarg_segment_size: 3312
    .language:       OpenCL C
    .language_version:
      - 2
      - 0
    .max_flat_workgroup_size: 512
    .name:           _ZN2at6native12_GLOBAL__N_125multi_tensor_apply_kernelINS1_18TensorListMetadataILi4EEENS1_20TernaryOpListFunctorIN3c108BFloat16ELi4ELi3ELi3EEEJNS0_11LerpFunctorIfEEEEEvT_T0_DpT1_
    .private_segment_fixed_size: 0
    .sgpr_count:     25
    .sgpr_spill_count: 0
    .symbol:         _ZN2at6native12_GLOBAL__N_125multi_tensor_apply_kernelINS1_18TensorListMetadataILi4EEENS1_20TernaryOpListFunctorIN3c108BFloat16ELi4ELi3ELi3EEEJNS0_11LerpFunctorIfEEEEEvT_T0_DpT1_.kd
    .uniform_work_group_size: 1
    .uses_dynamic_stack: false
    .vgpr_count:     51
    .vgpr_spill_count: 0
    .wavefront_size: 32
    .workgroup_processor_mode: 1
  - .args:
      - .offset:         0
        .size:           3144
        .value_kind:     by_value
      - .offset:         3144
        .size:           1
        .value_kind:     by_value
      - .offset:         3145
        .size:           1
        .value_kind:     by_value
      - .offset:         3152
        .size:           4
        .value_kind:     hidden_block_count_x
      - .offset:         3156
        .size:           4
        .value_kind:     hidden_block_count_y
      - .offset:         3160
        .size:           4
        .value_kind:     hidden_block_count_z
      - .offset:         3164
        .size:           2
        .value_kind:     hidden_group_size_x
      - .offset:         3166
        .size:           2
        .value_kind:     hidden_group_size_y
      - .offset:         3168
        .size:           2
        .value_kind:     hidden_group_size_z
      - .offset:         3170
        .size:           2
        .value_kind:     hidden_remainder_x
      - .offset:         3172
        .size:           2
        .value_kind:     hidden_remainder_y
      - .offset:         3174
        .size:           2
        .value_kind:     hidden_remainder_z
      - .offset:         3192
        .size:           8
        .value_kind:     hidden_global_offset_x
      - .offset:         3200
        .size:           8
        .value_kind:     hidden_global_offset_y
      - .offset:         3208
        .size:           8
        .value_kind:     hidden_global_offset_z
      - .offset:         3216
        .size:           2
        .value_kind:     hidden_grid_dims
    .group_segment_fixed_size: 0
    .kernarg_segment_align: 8
    .kernarg_segment_size: 3408
    .language:       OpenCL C
    .language_version:
      - 2
      - 0
    .max_flat_workgroup_size: 512
    .name:           _ZN2at6native12_GLOBAL__N_125multi_tensor_apply_kernelINS1_18TensorListMetadataILi3EEENS1_20TernaryOpListFunctorIdLi3ELi3ELi0EEEJNS0_11LerpFunctorIdEEEEEvT_T0_DpT1_
    .private_segment_fixed_size: 0
    .sgpr_count:     28
    .sgpr_spill_count: 0
    .symbol:         _ZN2at6native12_GLOBAL__N_125multi_tensor_apply_kernelINS1_18TensorListMetadataILi3EEENS1_20TernaryOpListFunctorIdLi3ELi3ELi0EEEJNS0_11LerpFunctorIdEEEEEvT_T0_DpT1_.kd
    .uniform_work_group_size: 1
    .uses_dynamic_stack: false
    .vgpr_count:     59
    .vgpr_spill_count: 0
    .wavefront_size: 32
    .workgroup_processor_mode: 1
  - .args:
      - .offset:         0
        .size:           3144
        .value_kind:     by_value
      - .offset:         3144
        .size:           1
        .value_kind:     by_value
      - .offset:         3145
        .size:           1
        .value_kind:     by_value
      - .offset:         3152
        .size:           4
        .value_kind:     hidden_block_count_x
      - .offset:         3156
        .size:           4
        .value_kind:     hidden_block_count_y
      - .offset:         3160
        .size:           4
        .value_kind:     hidden_block_count_z
      - .offset:         3164
        .size:           2
        .value_kind:     hidden_group_size_x
      - .offset:         3166
        .size:           2
        .value_kind:     hidden_group_size_y
      - .offset:         3168
        .size:           2
        .value_kind:     hidden_group_size_z
      - .offset:         3170
        .size:           2
        .value_kind:     hidden_remainder_x
      - .offset:         3172
        .size:           2
        .value_kind:     hidden_remainder_y
      - .offset:         3174
        .size:           2
        .value_kind:     hidden_remainder_z
      - .offset:         3192
        .size:           8
        .value_kind:     hidden_global_offset_x
      - .offset:         3200
        .size:           8
        .value_kind:     hidden_global_offset_y
      - .offset:         3208
        .size:           8
        .value_kind:     hidden_global_offset_z
      - .offset:         3216
        .size:           2
        .value_kind:     hidden_grid_dims
    .group_segment_fixed_size: 0
    .kernarg_segment_align: 8
    .kernarg_segment_size: 3408
    .language:       OpenCL C
    .language_version:
      - 2
      - 0
    .max_flat_workgroup_size: 512
    .name:           _ZN2at6native12_GLOBAL__N_125multi_tensor_apply_kernelINS1_18TensorListMetadataILi3EEENS1_20TernaryOpListFunctorIfLi3ELi3ELi0EEEJNS0_11LerpFunctorIfEEEEEvT_T0_DpT1_
    .private_segment_fixed_size: 0
    .sgpr_count:     30
    .sgpr_spill_count: 0
    .symbol:         _ZN2at6native12_GLOBAL__N_125multi_tensor_apply_kernelINS1_18TensorListMetadataILi3EEENS1_20TernaryOpListFunctorIfLi3ELi3ELi0EEEJNS0_11LerpFunctorIfEEEEEvT_T0_DpT1_.kd
    .uniform_work_group_size: 1
    .uses_dynamic_stack: false
    .vgpr_count:     45
    .vgpr_spill_count: 0
    .wavefront_size: 32
    .workgroup_processor_mode: 1
  - .args:
      - .offset:         0
        .size:           3144
        .value_kind:     by_value
      - .offset:         3144
        .size:           1
        .value_kind:     by_value
      - .offset:         3145
        .size:           1
        .value_kind:     by_value
      - .offset:         3152
        .size:           4
        .value_kind:     hidden_block_count_x
      - .offset:         3156
        .size:           4
        .value_kind:     hidden_block_count_y
      - .offset:         3160
        .size:           4
        .value_kind:     hidden_block_count_z
      - .offset:         3164
        .size:           2
        .value_kind:     hidden_group_size_x
      - .offset:         3166
        .size:           2
        .value_kind:     hidden_group_size_y
      - .offset:         3168
        .size:           2
        .value_kind:     hidden_group_size_z
      - .offset:         3170
        .size:           2
        .value_kind:     hidden_remainder_x
      - .offset:         3172
        .size:           2
        .value_kind:     hidden_remainder_y
      - .offset:         3174
        .size:           2
        .value_kind:     hidden_remainder_z
      - .offset:         3192
        .size:           8
        .value_kind:     hidden_global_offset_x
      - .offset:         3200
        .size:           8
        .value_kind:     hidden_global_offset_y
      - .offset:         3208
        .size:           8
        .value_kind:     hidden_global_offset_z
      - .offset:         3216
        .size:           2
        .value_kind:     hidden_grid_dims
    .group_segment_fixed_size: 0
    .kernarg_segment_align: 8
    .kernarg_segment_size: 3408
    .language:       OpenCL C
    .language_version:
      - 2
      - 0
    .max_flat_workgroup_size: 512
    .name:           _ZN2at6native12_GLOBAL__N_125multi_tensor_apply_kernelINS1_18TensorListMetadataILi3EEENS1_20TernaryOpListFunctorIN3c107complexIdEELi3ELi3ELi0EEEJNS0_11LerpFunctorIS8_EEEEEvT_T0_DpT1_
    .private_segment_fixed_size: 0
    .sgpr_count:     29
    .sgpr_spill_count: 0
    .symbol:         _ZN2at6native12_GLOBAL__N_125multi_tensor_apply_kernelINS1_18TensorListMetadataILi3EEENS1_20TernaryOpListFunctorIN3c107complexIdEELi3ELi3ELi0EEEJNS0_11LerpFunctorIS8_EEEEEvT_T0_DpT1_.kd
    .uniform_work_group_size: 1
    .uses_dynamic_stack: false
    .vgpr_count:     82
    .vgpr_spill_count: 0
    .wavefront_size: 32
    .workgroup_processor_mode: 1
  - .args:
      - .offset:         0
        .size:           3144
        .value_kind:     by_value
      - .offset:         3144
        .size:           1
        .value_kind:     by_value
      - .offset:         3145
        .size:           1
        .value_kind:     by_value
      - .offset:         3152
        .size:           4
        .value_kind:     hidden_block_count_x
      - .offset:         3156
        .size:           4
        .value_kind:     hidden_block_count_y
      - .offset:         3160
        .size:           4
        .value_kind:     hidden_block_count_z
      - .offset:         3164
        .size:           2
        .value_kind:     hidden_group_size_x
      - .offset:         3166
        .size:           2
        .value_kind:     hidden_group_size_y
      - .offset:         3168
        .size:           2
        .value_kind:     hidden_group_size_z
      - .offset:         3170
        .size:           2
        .value_kind:     hidden_remainder_x
      - .offset:         3172
        .size:           2
        .value_kind:     hidden_remainder_y
      - .offset:         3174
        .size:           2
        .value_kind:     hidden_remainder_z
      - .offset:         3192
        .size:           8
        .value_kind:     hidden_global_offset_x
      - .offset:         3200
        .size:           8
        .value_kind:     hidden_global_offset_y
      - .offset:         3208
        .size:           8
        .value_kind:     hidden_global_offset_z
      - .offset:         3216
        .size:           2
        .value_kind:     hidden_grid_dims
    .group_segment_fixed_size: 0
    .kernarg_segment_align: 8
    .kernarg_segment_size: 3408
    .language:       OpenCL C
    .language_version:
      - 2
      - 0
    .max_flat_workgroup_size: 512
    .name:           _ZN2at6native12_GLOBAL__N_125multi_tensor_apply_kernelINS1_18TensorListMetadataILi3EEENS1_20TernaryOpListFunctorIN3c107complexIfEELi3ELi3ELi0EEEJNS0_11LerpFunctorIS8_EEEEEvT_T0_DpT1_
    .private_segment_fixed_size: 0
    .sgpr_count:     28
    .sgpr_spill_count: 0
    .symbol:         _ZN2at6native12_GLOBAL__N_125multi_tensor_apply_kernelINS1_18TensorListMetadataILi3EEENS1_20TernaryOpListFunctorIN3c107complexIfEELi3ELi3ELi0EEEJNS0_11LerpFunctorIS8_EEEEEvT_T0_DpT1_.kd
    .uniform_work_group_size: 1
    .uses_dynamic_stack: false
    .vgpr_count:     54
    .vgpr_spill_count: 0
    .wavefront_size: 32
    .workgroup_processor_mode: 1
  - .args:
      - .offset:         0
        .size:           3144
        .value_kind:     by_value
      - .offset:         3144
        .size:           1
        .value_kind:     by_value
      - .offset:         3145
        .size:           1
        .value_kind:     by_value
      - .offset:         3152
        .size:           4
        .value_kind:     hidden_block_count_x
      - .offset:         3156
        .size:           4
        .value_kind:     hidden_block_count_y
      - .offset:         3160
        .size:           4
        .value_kind:     hidden_block_count_z
      - .offset:         3164
        .size:           2
        .value_kind:     hidden_group_size_x
      - .offset:         3166
        .size:           2
        .value_kind:     hidden_group_size_y
      - .offset:         3168
        .size:           2
        .value_kind:     hidden_group_size_z
      - .offset:         3170
        .size:           2
        .value_kind:     hidden_remainder_x
      - .offset:         3172
        .size:           2
        .value_kind:     hidden_remainder_y
      - .offset:         3174
        .size:           2
        .value_kind:     hidden_remainder_z
      - .offset:         3192
        .size:           8
        .value_kind:     hidden_global_offset_x
      - .offset:         3200
        .size:           8
        .value_kind:     hidden_global_offset_y
      - .offset:         3208
        .size:           8
        .value_kind:     hidden_global_offset_z
      - .offset:         3216
        .size:           2
        .value_kind:     hidden_grid_dims
    .group_segment_fixed_size: 0
    .kernarg_segment_align: 8
    .kernarg_segment_size: 3408
    .language:       OpenCL C
    .language_version:
      - 2
      - 0
    .max_flat_workgroup_size: 512
    .name:           _ZN2at6native12_GLOBAL__N_125multi_tensor_apply_kernelINS1_18TensorListMetadataILi3EEENS1_20TernaryOpListFunctorIN3c104HalfELi3ELi3ELi0EEEJNS0_11LerpFunctorIfEEEEEvT_T0_DpT1_
    .private_segment_fixed_size: 0
    .sgpr_count:     29
    .sgpr_spill_count: 0
    .symbol:         _ZN2at6native12_GLOBAL__N_125multi_tensor_apply_kernelINS1_18TensorListMetadataILi3EEENS1_20TernaryOpListFunctorIN3c104HalfELi3ELi3ELi0EEEJNS0_11LerpFunctorIfEEEEEvT_T0_DpT1_.kd
    .uniform_work_group_size: 1
    .uses_dynamic_stack: false
    .vgpr_count:     46
    .vgpr_spill_count: 0
    .wavefront_size: 32
    .workgroup_processor_mode: 1
  - .args:
      - .offset:         0
        .size:           3144
        .value_kind:     by_value
      - .offset:         3144
        .size:           1
        .value_kind:     by_value
      - .offset:         3145
        .size:           1
        .value_kind:     by_value
      - .offset:         3152
        .size:           4
        .value_kind:     hidden_block_count_x
      - .offset:         3156
        .size:           4
        .value_kind:     hidden_block_count_y
      - .offset:         3160
        .size:           4
        .value_kind:     hidden_block_count_z
      - .offset:         3164
        .size:           2
        .value_kind:     hidden_group_size_x
      - .offset:         3166
        .size:           2
        .value_kind:     hidden_group_size_y
      - .offset:         3168
        .size:           2
        .value_kind:     hidden_group_size_z
      - .offset:         3170
        .size:           2
        .value_kind:     hidden_remainder_x
      - .offset:         3172
        .size:           2
        .value_kind:     hidden_remainder_y
      - .offset:         3174
        .size:           2
        .value_kind:     hidden_remainder_z
      - .offset:         3192
        .size:           8
        .value_kind:     hidden_global_offset_x
      - .offset:         3200
        .size:           8
        .value_kind:     hidden_global_offset_y
      - .offset:         3208
        .size:           8
        .value_kind:     hidden_global_offset_z
      - .offset:         3216
        .size:           2
        .value_kind:     hidden_grid_dims
    .group_segment_fixed_size: 0
    .kernarg_segment_align: 8
    .kernarg_segment_size: 3408
    .language:       OpenCL C
    .language_version:
      - 2
      - 0
    .max_flat_workgroup_size: 512
    .name:           _ZN2at6native12_GLOBAL__N_125multi_tensor_apply_kernelINS1_18TensorListMetadataILi3EEENS1_20TernaryOpListFunctorIN3c108BFloat16ELi3ELi3ELi0EEEJNS0_11LerpFunctorIfEEEEEvT_T0_DpT1_
    .private_segment_fixed_size: 0
    .sgpr_count:     23
    .sgpr_spill_count: 0
    .symbol:         _ZN2at6native12_GLOBAL__N_125multi_tensor_apply_kernelINS1_18TensorListMetadataILi3EEENS1_20TernaryOpListFunctorIN3c108BFloat16ELi3ELi3ELi0EEEJNS0_11LerpFunctorIfEEEEEvT_T0_DpT1_.kd
    .uniform_work_group_size: 1
    .uses_dynamic_stack: false
    .vgpr_count:     43
    .vgpr_spill_count: 0
    .wavefront_size: 32
    .workgroup_processor_mode: 1
  - .args:
      - .offset:         0
        .size:           3144
        .value_kind:     by_value
      - .offset:         3144
        .size:           1
        .value_kind:     by_value
      - .offset:         3145
        .size:           1
        .value_kind:     by_value
      - .offset:         3152
        .size:           8
        .value_kind:     by_value
      - .offset:         3160
        .size:           4
        .value_kind:     hidden_block_count_x
      - .offset:         3164
        .size:           4
        .value_kind:     hidden_block_count_y
      - .offset:         3168
        .size:           4
        .value_kind:     hidden_block_count_z
      - .offset:         3172
        .size:           2
        .value_kind:     hidden_group_size_x
      - .offset:         3174
        .size:           2
        .value_kind:     hidden_group_size_y
      - .offset:         3176
        .size:           2
        .value_kind:     hidden_group_size_z
      - .offset:         3178
        .size:           2
        .value_kind:     hidden_remainder_x
      - .offset:         3180
        .size:           2
        .value_kind:     hidden_remainder_y
      - .offset:         3182
        .size:           2
        .value_kind:     hidden_remainder_z
      - .offset:         3200
        .size:           8
        .value_kind:     hidden_global_offset_x
      - .offset:         3208
        .size:           8
        .value_kind:     hidden_global_offset_y
      - .offset:         3216
        .size:           8
        .value_kind:     hidden_global_offset_z
      - .offset:         3224
        .size:           2
        .value_kind:     hidden_grid_dims
    .group_segment_fixed_size: 0
    .kernarg_segment_align: 8
    .kernarg_segment_size: 3416
    .language:       OpenCL C
    .language_version:
      - 2
      - 0
    .max_flat_workgroup_size: 512
    .name:           _ZN2at6native12_GLOBAL__N_125multi_tensor_apply_kernelINS1_18TensorListMetadataILi3EEENS1_22TernaryOpScalarFunctorIdLi3ELi2ELi2EEEJNS0_11LerpFunctorIdEEdEEEvT_T0_DpT1_
    .private_segment_fixed_size: 0
    .sgpr_count:     29
    .sgpr_spill_count: 0
    .symbol:         _ZN2at6native12_GLOBAL__N_125multi_tensor_apply_kernelINS1_18TensorListMetadataILi3EEENS1_22TernaryOpScalarFunctorIdLi3ELi2ELi2EEEJNS0_11LerpFunctorIdEEdEEEvT_T0_DpT1_.kd
    .uniform_work_group_size: 1
    .uses_dynamic_stack: false
    .vgpr_count:     51
    .vgpr_spill_count: 0
    .wavefront_size: 32
    .workgroup_processor_mode: 1
  - .args:
      - .offset:         0
        .size:           3144
        .value_kind:     by_value
      - .offset:         3144
        .size:           1
        .value_kind:     by_value
      - .offset:         3145
        .size:           1
        .value_kind:     by_value
      - .offset:         3148
        .size:           4
        .value_kind:     by_value
      - .offset:         3152
        .size:           4
        .value_kind:     hidden_block_count_x
      - .offset:         3156
        .size:           4
        .value_kind:     hidden_block_count_y
      - .offset:         3160
        .size:           4
        .value_kind:     hidden_block_count_z
      - .offset:         3164
        .size:           2
        .value_kind:     hidden_group_size_x
      - .offset:         3166
        .size:           2
        .value_kind:     hidden_group_size_y
      - .offset:         3168
        .size:           2
        .value_kind:     hidden_group_size_z
      - .offset:         3170
        .size:           2
        .value_kind:     hidden_remainder_x
      - .offset:         3172
        .size:           2
        .value_kind:     hidden_remainder_y
      - .offset:         3174
        .size:           2
        .value_kind:     hidden_remainder_z
      - .offset:         3192
        .size:           8
        .value_kind:     hidden_global_offset_x
      - .offset:         3200
        .size:           8
        .value_kind:     hidden_global_offset_y
      - .offset:         3208
        .size:           8
        .value_kind:     hidden_global_offset_z
      - .offset:         3216
        .size:           2
        .value_kind:     hidden_grid_dims
    .group_segment_fixed_size: 0
    .kernarg_segment_align: 8
    .kernarg_segment_size: 3408
    .language:       OpenCL C
    .language_version:
      - 2
      - 0
    .max_flat_workgroup_size: 512
    .name:           _ZN2at6native12_GLOBAL__N_125multi_tensor_apply_kernelINS1_18TensorListMetadataILi3EEENS1_22TernaryOpScalarFunctorIfLi3ELi2ELi2EEEJNS0_11LerpFunctorIfEEfEEEvT_T0_DpT1_
    .private_segment_fixed_size: 0
    .sgpr_count:     29
    .sgpr_spill_count: 0
    .symbol:         _ZN2at6native12_GLOBAL__N_125multi_tensor_apply_kernelINS1_18TensorListMetadataILi3EEENS1_22TernaryOpScalarFunctorIfLi3ELi2ELi2EEEJNS0_11LerpFunctorIfEEfEEEvT_T0_DpT1_.kd
    .uniform_work_group_size: 1
    .uses_dynamic_stack: false
    .vgpr_count:     42
    .vgpr_spill_count: 0
    .wavefront_size: 32
    .workgroup_processor_mode: 1
  - .args:
      - .offset:         0
        .size:           3144
        .value_kind:     by_value
      - .offset:         3144
        .size:           1
        .value_kind:     by_value
      - .offset:         3145
        .size:           1
        .value_kind:     by_value
      - .offset:         3152
        .size:           16
        .value_kind:     by_value
      - .offset:         3168
        .size:           4
        .value_kind:     hidden_block_count_x
      - .offset:         3172
        .size:           4
        .value_kind:     hidden_block_count_y
      - .offset:         3176
        .size:           4
        .value_kind:     hidden_block_count_z
      - .offset:         3180
        .size:           2
        .value_kind:     hidden_group_size_x
      - .offset:         3182
        .size:           2
        .value_kind:     hidden_group_size_y
      - .offset:         3184
        .size:           2
        .value_kind:     hidden_group_size_z
      - .offset:         3186
        .size:           2
        .value_kind:     hidden_remainder_x
      - .offset:         3188
        .size:           2
        .value_kind:     hidden_remainder_y
      - .offset:         3190
        .size:           2
        .value_kind:     hidden_remainder_z
      - .offset:         3208
        .size:           8
        .value_kind:     hidden_global_offset_x
      - .offset:         3216
        .size:           8
        .value_kind:     hidden_global_offset_y
      - .offset:         3224
        .size:           8
        .value_kind:     hidden_global_offset_z
      - .offset:         3232
        .size:           2
        .value_kind:     hidden_grid_dims
    .group_segment_fixed_size: 0
    .kernarg_segment_align: 16
    .kernarg_segment_size: 3424
    .language:       OpenCL C
    .language_version:
      - 2
      - 0
    .max_flat_workgroup_size: 512
    .name:           _ZN2at6native12_GLOBAL__N_125multi_tensor_apply_kernelINS1_18TensorListMetadataILi3EEENS1_22TernaryOpScalarFunctorIN3c107complexIdEELi3ELi2ELi2EEEJNS0_11LerpFunctorIS8_EES8_EEEvT_T0_DpT1_
    .private_segment_fixed_size: 0
    .sgpr_count:     31
    .sgpr_spill_count: 0
    .symbol:         _ZN2at6native12_GLOBAL__N_125multi_tensor_apply_kernelINS1_18TensorListMetadataILi3EEENS1_22TernaryOpScalarFunctorIN3c107complexIdEELi3ELi2ELi2EEEJNS0_11LerpFunctorIS8_EES8_EEEvT_T0_DpT1_.kd
    .uniform_work_group_size: 1
    .uses_dynamic_stack: false
    .vgpr_count:     70
    .vgpr_spill_count: 0
    .wavefront_size: 32
    .workgroup_processor_mode: 1
  - .args:
      - .offset:         0
        .size:           3144
        .value_kind:     by_value
      - .offset:         3144
        .size:           1
        .value_kind:     by_value
      - .offset:         3145
        .size:           1
        .value_kind:     by_value
      - .offset:         3152
        .size:           8
        .value_kind:     by_value
      - .offset:         3160
        .size:           4
        .value_kind:     hidden_block_count_x
      - .offset:         3164
        .size:           4
        .value_kind:     hidden_block_count_y
      - .offset:         3168
        .size:           4
        .value_kind:     hidden_block_count_z
      - .offset:         3172
        .size:           2
        .value_kind:     hidden_group_size_x
      - .offset:         3174
        .size:           2
        .value_kind:     hidden_group_size_y
      - .offset:         3176
        .size:           2
        .value_kind:     hidden_group_size_z
      - .offset:         3178
        .size:           2
        .value_kind:     hidden_remainder_x
      - .offset:         3180
        .size:           2
        .value_kind:     hidden_remainder_y
      - .offset:         3182
        .size:           2
        .value_kind:     hidden_remainder_z
      - .offset:         3200
        .size:           8
        .value_kind:     hidden_global_offset_x
      - .offset:         3208
        .size:           8
        .value_kind:     hidden_global_offset_y
      - .offset:         3216
        .size:           8
        .value_kind:     hidden_global_offset_z
      - .offset:         3224
        .size:           2
        .value_kind:     hidden_grid_dims
    .group_segment_fixed_size: 0
    .kernarg_segment_align: 8
    .kernarg_segment_size: 3416
    .language:       OpenCL C
    .language_version:
      - 2
      - 0
    .max_flat_workgroup_size: 512
    .name:           _ZN2at6native12_GLOBAL__N_125multi_tensor_apply_kernelINS1_18TensorListMetadataILi3EEENS1_22TernaryOpScalarFunctorIN3c107complexIfEELi3ELi2ELi2EEEJNS0_11LerpFunctorIS8_EES8_EEEvT_T0_DpT1_
    .private_segment_fixed_size: 0
    .sgpr_count:     29
    .sgpr_spill_count: 0
    .symbol:         _ZN2at6native12_GLOBAL__N_125multi_tensor_apply_kernelINS1_18TensorListMetadataILi3EEENS1_22TernaryOpScalarFunctorIN3c107complexIfEELi3ELi2ELi2EEEJNS0_11LerpFunctorIS8_EES8_EEEvT_T0_DpT1_.kd
    .uniform_work_group_size: 1
    .uses_dynamic_stack: false
    .vgpr_count:     48
    .vgpr_spill_count: 0
    .wavefront_size: 32
    .workgroup_processor_mode: 1
  - .args:
      - .offset:         0
        .size:           3144
        .value_kind:     by_value
      - .offset:         3144
        .size:           1
        .value_kind:     by_value
      - .offset:         3145
        .size:           1
        .value_kind:     by_value
      - .offset:         3148
        .size:           4
        .value_kind:     by_value
      - .offset:         3152
        .size:           4
        .value_kind:     hidden_block_count_x
      - .offset:         3156
        .size:           4
        .value_kind:     hidden_block_count_y
      - .offset:         3160
        .size:           4
        .value_kind:     hidden_block_count_z
      - .offset:         3164
        .size:           2
        .value_kind:     hidden_group_size_x
      - .offset:         3166
        .size:           2
        .value_kind:     hidden_group_size_y
      - .offset:         3168
        .size:           2
        .value_kind:     hidden_group_size_z
      - .offset:         3170
        .size:           2
        .value_kind:     hidden_remainder_x
      - .offset:         3172
        .size:           2
        .value_kind:     hidden_remainder_y
      - .offset:         3174
        .size:           2
        .value_kind:     hidden_remainder_z
      - .offset:         3192
        .size:           8
        .value_kind:     hidden_global_offset_x
      - .offset:         3200
        .size:           8
        .value_kind:     hidden_global_offset_y
      - .offset:         3208
        .size:           8
        .value_kind:     hidden_global_offset_z
      - .offset:         3216
        .size:           2
        .value_kind:     hidden_grid_dims
    .group_segment_fixed_size: 0
    .kernarg_segment_align: 8
    .kernarg_segment_size: 3408
    .language:       OpenCL C
    .language_version:
      - 2
      - 0
    .max_flat_workgroup_size: 512
    .name:           _ZN2at6native12_GLOBAL__N_125multi_tensor_apply_kernelINS1_18TensorListMetadataILi3EEENS1_22TernaryOpScalarFunctorIN3c104HalfELi3ELi2ELi2EEEJNS0_11LerpFunctorIfEEfEEEvT_T0_DpT1_
    .private_segment_fixed_size: 0
    .sgpr_count:     29
    .sgpr_spill_count: 0
    .symbol:         _ZN2at6native12_GLOBAL__N_125multi_tensor_apply_kernelINS1_18TensorListMetadataILi3EEENS1_22TernaryOpScalarFunctorIN3c104HalfELi3ELi2ELi2EEEJNS0_11LerpFunctorIfEEfEEEvT_T0_DpT1_.kd
    .uniform_work_group_size: 1
    .uses_dynamic_stack: false
    .vgpr_count:     42
    .vgpr_spill_count: 0
    .wavefront_size: 32
    .workgroup_processor_mode: 1
  - .args:
      - .offset:         0
        .size:           3144
        .value_kind:     by_value
      - .offset:         3144
        .size:           1
        .value_kind:     by_value
      - .offset:         3145
        .size:           1
        .value_kind:     by_value
      - .offset:         3148
        .size:           4
        .value_kind:     by_value
      - .offset:         3152
        .size:           4
        .value_kind:     hidden_block_count_x
      - .offset:         3156
        .size:           4
        .value_kind:     hidden_block_count_y
      - .offset:         3160
        .size:           4
        .value_kind:     hidden_block_count_z
      - .offset:         3164
        .size:           2
        .value_kind:     hidden_group_size_x
      - .offset:         3166
        .size:           2
        .value_kind:     hidden_group_size_y
      - .offset:         3168
        .size:           2
        .value_kind:     hidden_group_size_z
      - .offset:         3170
        .size:           2
        .value_kind:     hidden_remainder_x
      - .offset:         3172
        .size:           2
        .value_kind:     hidden_remainder_y
      - .offset:         3174
        .size:           2
        .value_kind:     hidden_remainder_z
      - .offset:         3192
        .size:           8
        .value_kind:     hidden_global_offset_x
      - .offset:         3200
        .size:           8
        .value_kind:     hidden_global_offset_y
      - .offset:         3208
        .size:           8
        .value_kind:     hidden_global_offset_z
      - .offset:         3216
        .size:           2
        .value_kind:     hidden_grid_dims
    .group_segment_fixed_size: 0
    .kernarg_segment_align: 8
    .kernarg_segment_size: 3408
    .language:       OpenCL C
    .language_version:
      - 2
      - 0
    .max_flat_workgroup_size: 512
    .name:           _ZN2at6native12_GLOBAL__N_125multi_tensor_apply_kernelINS1_18TensorListMetadataILi3EEENS1_22TernaryOpScalarFunctorIN3c108BFloat16ELi3ELi2ELi2EEEJNS0_11LerpFunctorIfEEfEEEvT_T0_DpT1_
    .private_segment_fixed_size: 0
    .sgpr_count:     24
    .sgpr_spill_count: 0
    .symbol:         _ZN2at6native12_GLOBAL__N_125multi_tensor_apply_kernelINS1_18TensorListMetadataILi3EEENS1_22TernaryOpScalarFunctorIN3c108BFloat16ELi3ELi2ELi2EEEJNS0_11LerpFunctorIfEEfEEEvT_T0_DpT1_.kd
    .uniform_work_group_size: 1
    .uses_dynamic_stack: false
    .vgpr_count:     41
    .vgpr_spill_count: 0
    .wavefront_size: 32
    .workgroup_processor_mode: 1
  - .args:
      - .offset:         0
        .size:           3144
        .value_kind:     by_value
      - .offset:         3144
        .size:           1
        .value_kind:     by_value
      - .offset:         3145
        .size:           1
        .value_kind:     by_value
      - .offset:         3152
        .size:           8
        .value_kind:     by_value
      - .offset:         3160
        .size:           4
        .value_kind:     hidden_block_count_x
      - .offset:         3164
        .size:           4
        .value_kind:     hidden_block_count_y
      - .offset:         3168
        .size:           4
        .value_kind:     hidden_block_count_z
      - .offset:         3172
        .size:           2
        .value_kind:     hidden_group_size_x
      - .offset:         3174
        .size:           2
        .value_kind:     hidden_group_size_y
      - .offset:         3176
        .size:           2
        .value_kind:     hidden_group_size_z
      - .offset:         3178
        .size:           2
        .value_kind:     hidden_remainder_x
      - .offset:         3180
        .size:           2
        .value_kind:     hidden_remainder_y
      - .offset:         3182
        .size:           2
        .value_kind:     hidden_remainder_z
      - .offset:         3200
        .size:           8
        .value_kind:     hidden_global_offset_x
      - .offset:         3208
        .size:           8
        .value_kind:     hidden_global_offset_y
      - .offset:         3216
        .size:           8
        .value_kind:     hidden_global_offset_z
      - .offset:         3224
        .size:           2
        .value_kind:     hidden_grid_dims
    .group_segment_fixed_size: 0
    .kernarg_segment_align: 8
    .kernarg_segment_size: 3416
    .language:       OpenCL C
    .language_version:
      - 2
      - 0
    .max_flat_workgroup_size: 512
    .name:           _ZN2at6native12_GLOBAL__N_125multi_tensor_apply_kernelINS1_18TensorListMetadataILi2EEENS1_22TernaryOpScalarFunctorIdLi2ELi2ELi0EEEJNS0_11LerpFunctorIdEEdEEEvT_T0_DpT1_
    .private_segment_fixed_size: 0
    .sgpr_count:     28
    .sgpr_spill_count: 0
    .symbol:         _ZN2at6native12_GLOBAL__N_125multi_tensor_apply_kernelINS1_18TensorListMetadataILi2EEENS1_22TernaryOpScalarFunctorIdLi2ELi2ELi0EEEJNS0_11LerpFunctorIdEEdEEEvT_T0_DpT1_.kd
    .uniform_work_group_size: 1
    .uses_dynamic_stack: false
    .vgpr_count:     43
    .vgpr_spill_count: 0
    .wavefront_size: 32
    .workgroup_processor_mode: 1
  - .args:
      - .offset:         0
        .size:           3144
        .value_kind:     by_value
      - .offset:         3144
        .size:           1
        .value_kind:     by_value
      - .offset:         3145
        .size:           1
        .value_kind:     by_value
      - .offset:         3148
        .size:           4
        .value_kind:     by_value
      - .offset:         3152
        .size:           4
        .value_kind:     hidden_block_count_x
      - .offset:         3156
        .size:           4
        .value_kind:     hidden_block_count_y
      - .offset:         3160
        .size:           4
        .value_kind:     hidden_block_count_z
      - .offset:         3164
        .size:           2
        .value_kind:     hidden_group_size_x
      - .offset:         3166
        .size:           2
        .value_kind:     hidden_group_size_y
      - .offset:         3168
        .size:           2
        .value_kind:     hidden_group_size_z
      - .offset:         3170
        .size:           2
        .value_kind:     hidden_remainder_x
      - .offset:         3172
        .size:           2
        .value_kind:     hidden_remainder_y
      - .offset:         3174
        .size:           2
        .value_kind:     hidden_remainder_z
      - .offset:         3192
        .size:           8
        .value_kind:     hidden_global_offset_x
      - .offset:         3200
        .size:           8
        .value_kind:     hidden_global_offset_y
      - .offset:         3208
        .size:           8
        .value_kind:     hidden_global_offset_z
      - .offset:         3216
        .size:           2
        .value_kind:     hidden_grid_dims
    .group_segment_fixed_size: 0
    .kernarg_segment_align: 8
    .kernarg_segment_size: 3408
    .language:       OpenCL C
    .language_version:
      - 2
      - 0
    .max_flat_workgroup_size: 512
    .name:           _ZN2at6native12_GLOBAL__N_125multi_tensor_apply_kernelINS1_18TensorListMetadataILi2EEENS1_22TernaryOpScalarFunctorIfLi2ELi2ELi0EEEJNS0_11LerpFunctorIfEEfEEEvT_T0_DpT1_
    .private_segment_fixed_size: 0
    .sgpr_count:     26
    .sgpr_spill_count: 0
    .symbol:         _ZN2at6native12_GLOBAL__N_125multi_tensor_apply_kernelINS1_18TensorListMetadataILi2EEENS1_22TernaryOpScalarFunctorIfLi2ELi2ELi0EEEJNS0_11LerpFunctorIfEEfEEEvT_T0_DpT1_.kd
    .uniform_work_group_size: 1
    .uses_dynamic_stack: false
    .vgpr_count:     34
    .vgpr_spill_count: 0
    .wavefront_size: 32
    .workgroup_processor_mode: 1
  - .args:
      - .offset:         0
        .size:           3144
        .value_kind:     by_value
      - .offset:         3144
        .size:           1
        .value_kind:     by_value
      - .offset:         3145
        .size:           1
        .value_kind:     by_value
      - .offset:         3152
        .size:           16
        .value_kind:     by_value
      - .offset:         3168
        .size:           4
        .value_kind:     hidden_block_count_x
      - .offset:         3172
        .size:           4
        .value_kind:     hidden_block_count_y
      - .offset:         3176
        .size:           4
        .value_kind:     hidden_block_count_z
      - .offset:         3180
        .size:           2
        .value_kind:     hidden_group_size_x
      - .offset:         3182
        .size:           2
        .value_kind:     hidden_group_size_y
      - .offset:         3184
        .size:           2
        .value_kind:     hidden_group_size_z
      - .offset:         3186
        .size:           2
        .value_kind:     hidden_remainder_x
      - .offset:         3188
        .size:           2
        .value_kind:     hidden_remainder_y
      - .offset:         3190
        .size:           2
        .value_kind:     hidden_remainder_z
      - .offset:         3208
        .size:           8
        .value_kind:     hidden_global_offset_x
      - .offset:         3216
        .size:           8
        .value_kind:     hidden_global_offset_y
      - .offset:         3224
        .size:           8
        .value_kind:     hidden_global_offset_z
      - .offset:         3232
        .size:           2
        .value_kind:     hidden_grid_dims
    .group_segment_fixed_size: 0
    .kernarg_segment_align: 16
    .kernarg_segment_size: 3424
    .language:       OpenCL C
    .language_version:
      - 2
      - 0
    .max_flat_workgroup_size: 512
    .name:           _ZN2at6native12_GLOBAL__N_125multi_tensor_apply_kernelINS1_18TensorListMetadataILi2EEENS1_22TernaryOpScalarFunctorIN3c107complexIdEELi2ELi2ELi0EEEJNS0_11LerpFunctorIS8_EES8_EEEvT_T0_DpT1_
    .private_segment_fixed_size: 0
    .sgpr_count:     30
    .sgpr_spill_count: 0
    .symbol:         _ZN2at6native12_GLOBAL__N_125multi_tensor_apply_kernelINS1_18TensorListMetadataILi2EEENS1_22TernaryOpScalarFunctorIN3c107complexIdEELi2ELi2ELi0EEEJNS0_11LerpFunctorIS8_EES8_EEEvT_T0_DpT1_.kd
    .uniform_work_group_size: 1
    .uses_dynamic_stack: false
    .vgpr_count:     62
    .vgpr_spill_count: 0
    .wavefront_size: 32
    .workgroup_processor_mode: 1
  - .args:
      - .offset:         0
        .size:           3144
        .value_kind:     by_value
      - .offset:         3144
        .size:           1
        .value_kind:     by_value
      - .offset:         3145
        .size:           1
        .value_kind:     by_value
      - .offset:         3152
        .size:           8
        .value_kind:     by_value
      - .offset:         3160
        .size:           4
        .value_kind:     hidden_block_count_x
      - .offset:         3164
        .size:           4
        .value_kind:     hidden_block_count_y
      - .offset:         3168
        .size:           4
        .value_kind:     hidden_block_count_z
      - .offset:         3172
        .size:           2
        .value_kind:     hidden_group_size_x
      - .offset:         3174
        .size:           2
        .value_kind:     hidden_group_size_y
      - .offset:         3176
        .size:           2
        .value_kind:     hidden_group_size_z
      - .offset:         3178
        .size:           2
        .value_kind:     hidden_remainder_x
      - .offset:         3180
        .size:           2
        .value_kind:     hidden_remainder_y
      - .offset:         3182
        .size:           2
        .value_kind:     hidden_remainder_z
      - .offset:         3200
        .size:           8
        .value_kind:     hidden_global_offset_x
      - .offset:         3208
        .size:           8
        .value_kind:     hidden_global_offset_y
      - .offset:         3216
        .size:           8
        .value_kind:     hidden_global_offset_z
      - .offset:         3224
        .size:           2
        .value_kind:     hidden_grid_dims
    .group_segment_fixed_size: 0
    .kernarg_segment_align: 8
    .kernarg_segment_size: 3416
    .language:       OpenCL C
    .language_version:
      - 2
      - 0
    .max_flat_workgroup_size: 512
    .name:           _ZN2at6native12_GLOBAL__N_125multi_tensor_apply_kernelINS1_18TensorListMetadataILi2EEENS1_22TernaryOpScalarFunctorIN3c107complexIfEELi2ELi2ELi0EEEJNS0_11LerpFunctorIS8_EES8_EEEvT_T0_DpT1_
    .private_segment_fixed_size: 0
    .sgpr_count:     26
    .sgpr_spill_count: 0
    .symbol:         _ZN2at6native12_GLOBAL__N_125multi_tensor_apply_kernelINS1_18TensorListMetadataILi2EEENS1_22TernaryOpScalarFunctorIN3c107complexIfEELi2ELi2ELi0EEEJNS0_11LerpFunctorIS8_EES8_EEEvT_T0_DpT1_.kd
    .uniform_work_group_size: 1
    .uses_dynamic_stack: false
    .vgpr_count:     40
    .vgpr_spill_count: 0
    .wavefront_size: 32
    .workgroup_processor_mode: 1
  - .args:
      - .offset:         0
        .size:           3144
        .value_kind:     by_value
      - .offset:         3144
        .size:           1
        .value_kind:     by_value
      - .offset:         3145
        .size:           1
        .value_kind:     by_value
      - .offset:         3148
        .size:           4
        .value_kind:     by_value
      - .offset:         3152
        .size:           4
        .value_kind:     hidden_block_count_x
      - .offset:         3156
        .size:           4
        .value_kind:     hidden_block_count_y
      - .offset:         3160
        .size:           4
        .value_kind:     hidden_block_count_z
      - .offset:         3164
        .size:           2
        .value_kind:     hidden_group_size_x
      - .offset:         3166
        .size:           2
        .value_kind:     hidden_group_size_y
      - .offset:         3168
        .size:           2
        .value_kind:     hidden_group_size_z
      - .offset:         3170
        .size:           2
        .value_kind:     hidden_remainder_x
      - .offset:         3172
        .size:           2
        .value_kind:     hidden_remainder_y
      - .offset:         3174
        .size:           2
        .value_kind:     hidden_remainder_z
      - .offset:         3192
        .size:           8
        .value_kind:     hidden_global_offset_x
      - .offset:         3200
        .size:           8
        .value_kind:     hidden_global_offset_y
      - .offset:         3208
        .size:           8
        .value_kind:     hidden_global_offset_z
      - .offset:         3216
        .size:           2
        .value_kind:     hidden_grid_dims
    .group_segment_fixed_size: 0
    .kernarg_segment_align: 8
    .kernarg_segment_size: 3408
    .language:       OpenCL C
    .language_version:
      - 2
      - 0
    .max_flat_workgroup_size: 512
    .name:           _ZN2at6native12_GLOBAL__N_125multi_tensor_apply_kernelINS1_18TensorListMetadataILi2EEENS1_22TernaryOpScalarFunctorIN3c104HalfELi2ELi2ELi0EEEJNS0_11LerpFunctorIfEEfEEEvT_T0_DpT1_
    .private_segment_fixed_size: 0
    .sgpr_count:     26
    .sgpr_spill_count: 0
    .symbol:         _ZN2at6native12_GLOBAL__N_125multi_tensor_apply_kernelINS1_18TensorListMetadataILi2EEENS1_22TernaryOpScalarFunctorIN3c104HalfELi2ELi2ELi0EEEJNS0_11LerpFunctorIfEEfEEEvT_T0_DpT1_.kd
    .uniform_work_group_size: 1
    .uses_dynamic_stack: false
    .vgpr_count:     34
    .vgpr_spill_count: 0
    .wavefront_size: 32
    .workgroup_processor_mode: 1
  - .args:
      - .offset:         0
        .size:           3144
        .value_kind:     by_value
      - .offset:         3144
        .size:           1
        .value_kind:     by_value
      - .offset:         3145
        .size:           1
        .value_kind:     by_value
      - .offset:         3148
        .size:           4
        .value_kind:     by_value
      - .offset:         3152
        .size:           4
        .value_kind:     hidden_block_count_x
      - .offset:         3156
        .size:           4
        .value_kind:     hidden_block_count_y
      - .offset:         3160
        .size:           4
        .value_kind:     hidden_block_count_z
      - .offset:         3164
        .size:           2
        .value_kind:     hidden_group_size_x
      - .offset:         3166
        .size:           2
        .value_kind:     hidden_group_size_y
      - .offset:         3168
        .size:           2
        .value_kind:     hidden_group_size_z
      - .offset:         3170
        .size:           2
        .value_kind:     hidden_remainder_x
      - .offset:         3172
        .size:           2
        .value_kind:     hidden_remainder_y
      - .offset:         3174
        .size:           2
        .value_kind:     hidden_remainder_z
      - .offset:         3192
        .size:           8
        .value_kind:     hidden_global_offset_x
      - .offset:         3200
        .size:           8
        .value_kind:     hidden_global_offset_y
      - .offset:         3208
        .size:           8
        .value_kind:     hidden_global_offset_z
      - .offset:         3216
        .size:           2
        .value_kind:     hidden_grid_dims
    .group_segment_fixed_size: 0
    .kernarg_segment_align: 8
    .kernarg_segment_size: 3408
    .language:       OpenCL C
    .language_version:
      - 2
      - 0
    .max_flat_workgroup_size: 512
    .name:           _ZN2at6native12_GLOBAL__N_125multi_tensor_apply_kernelINS1_18TensorListMetadataILi2EEENS1_22TernaryOpScalarFunctorIN3c108BFloat16ELi2ELi2ELi0EEEJNS0_11LerpFunctorIfEEfEEEvT_T0_DpT1_
    .private_segment_fixed_size: 0
    .sgpr_count:     22
    .sgpr_spill_count: 0
    .symbol:         _ZN2at6native12_GLOBAL__N_125multi_tensor_apply_kernelINS1_18TensorListMetadataILi2EEENS1_22TernaryOpScalarFunctorIN3c108BFloat16ELi2ELi2ELi0EEEJNS0_11LerpFunctorIfEEfEEEvT_T0_DpT1_.kd
    .uniform_work_group_size: 1
    .uses_dynamic_stack: false
    .vgpr_count:     33
    .vgpr_spill_count: 0
    .wavefront_size: 32
    .workgroup_processor_mode: 1
  - .args:
      - .offset:         0
        .size:           3520
        .value_kind:     by_value
      - .offset:         3520
        .size:           1
        .value_kind:     by_value
      - .offset:         3521
        .size:           1
        .value_kind:     by_value
      - .offset:         3528
        .size:           4
        .value_kind:     hidden_block_count_x
      - .offset:         3532
        .size:           4
        .value_kind:     hidden_block_count_y
      - .offset:         3536
        .size:           4
        .value_kind:     hidden_block_count_z
      - .offset:         3540
        .size:           2
        .value_kind:     hidden_group_size_x
      - .offset:         3542
        .size:           2
        .value_kind:     hidden_group_size_y
      - .offset:         3544
        .size:           2
        .value_kind:     hidden_group_size_z
      - .offset:         3546
        .size:           2
        .value_kind:     hidden_remainder_x
      - .offset:         3548
        .size:           2
        .value_kind:     hidden_remainder_y
      - .offset:         3550
        .size:           2
        .value_kind:     hidden_remainder_z
      - .offset:         3568
        .size:           8
        .value_kind:     hidden_global_offset_x
      - .offset:         3576
        .size:           8
        .value_kind:     hidden_global_offset_y
      - .offset:         3584
        .size:           8
        .value_kind:     hidden_global_offset_z
      - .offset:         3592
        .size:           2
        .value_kind:     hidden_grid_dims
    .group_segment_fixed_size: 0
    .kernarg_segment_align: 8
    .kernarg_segment_size: 3784
    .language:       OpenCL C
    .language_version:
      - 2
      - 0
    .max_flat_workgroup_size: 512
    .name:           _ZN2at6native12_GLOBAL__N_125multi_tensor_apply_kernelINS1_28TensorListScalarListMetadataIdLi3EEENS1_26TernaryOpScalarListFunctorIdLi3ELi2ELi2EEEJNS0_11LerpFunctorIdEEEEEvT_T0_DpT1_
    .private_segment_fixed_size: 0
    .sgpr_count:     30
    .sgpr_spill_count: 0
    .symbol:         _ZN2at6native12_GLOBAL__N_125multi_tensor_apply_kernelINS1_28TensorListScalarListMetadataIdLi3EEENS1_26TernaryOpScalarListFunctorIdLi3ELi2ELi2EEEJNS0_11LerpFunctorIdEEEEEvT_T0_DpT1_.kd
    .uniform_work_group_size: 1
    .uses_dynamic_stack: false
    .vgpr_count:     51
    .vgpr_spill_count: 0
    .wavefront_size: 32
    .workgroup_processor_mode: 1
  - .args:
      - .offset:         0
        .size:           3328
        .value_kind:     by_value
      - .offset:         3328
        .size:           1
        .value_kind:     by_value
      - .offset:         3329
        .size:           1
        .value_kind:     by_value
      - .offset:         3336
        .size:           4
        .value_kind:     hidden_block_count_x
      - .offset:         3340
        .size:           4
        .value_kind:     hidden_block_count_y
      - .offset:         3344
        .size:           4
        .value_kind:     hidden_block_count_z
      - .offset:         3348
        .size:           2
        .value_kind:     hidden_group_size_x
      - .offset:         3350
        .size:           2
        .value_kind:     hidden_group_size_y
      - .offset:         3352
        .size:           2
        .value_kind:     hidden_group_size_z
      - .offset:         3354
        .size:           2
        .value_kind:     hidden_remainder_x
      - .offset:         3356
        .size:           2
        .value_kind:     hidden_remainder_y
      - .offset:         3358
        .size:           2
        .value_kind:     hidden_remainder_z
      - .offset:         3376
        .size:           8
        .value_kind:     hidden_global_offset_x
      - .offset:         3384
        .size:           8
        .value_kind:     hidden_global_offset_y
      - .offset:         3392
        .size:           8
        .value_kind:     hidden_global_offset_z
      - .offset:         3400
        .size:           2
        .value_kind:     hidden_grid_dims
    .group_segment_fixed_size: 0
    .kernarg_segment_align: 8
    .kernarg_segment_size: 3592
    .language:       OpenCL C
    .language_version:
      - 2
      - 0
    .max_flat_workgroup_size: 512
    .name:           _ZN2at6native12_GLOBAL__N_125multi_tensor_apply_kernelINS1_28TensorListScalarListMetadataIfLi3EEENS1_26TernaryOpScalarListFunctorIfLi3ELi2ELi2EEEJNS0_11LerpFunctorIfEEEEEvT_T0_DpT1_
    .private_segment_fixed_size: 0
    .sgpr_count:     29
    .sgpr_spill_count: 0
    .symbol:         _ZN2at6native12_GLOBAL__N_125multi_tensor_apply_kernelINS1_28TensorListScalarListMetadataIfLi3EEENS1_26TernaryOpScalarListFunctorIfLi3ELi2ELi2EEEJNS0_11LerpFunctorIfEEEEEvT_T0_DpT1_.kd
    .uniform_work_group_size: 1
    .uses_dynamic_stack: false
    .vgpr_count:     42
    .vgpr_spill_count: 0
    .wavefront_size: 32
    .workgroup_processor_mode: 1
  - .args:
      - .offset:         0
        .size:           3904
        .value_kind:     by_value
      - .offset:         3904
        .size:           1
        .value_kind:     by_value
      - .offset:         3905
        .size:           1
        .value_kind:     by_value
      - .offset:         3912
        .size:           4
        .value_kind:     hidden_block_count_x
      - .offset:         3916
        .size:           4
        .value_kind:     hidden_block_count_y
      - .offset:         3920
        .size:           4
        .value_kind:     hidden_block_count_z
      - .offset:         3924
        .size:           2
        .value_kind:     hidden_group_size_x
      - .offset:         3926
        .size:           2
        .value_kind:     hidden_group_size_y
      - .offset:         3928
        .size:           2
        .value_kind:     hidden_group_size_z
      - .offset:         3930
        .size:           2
        .value_kind:     hidden_remainder_x
      - .offset:         3932
        .size:           2
        .value_kind:     hidden_remainder_y
      - .offset:         3934
        .size:           2
        .value_kind:     hidden_remainder_z
      - .offset:         3952
        .size:           8
        .value_kind:     hidden_global_offset_x
      - .offset:         3960
        .size:           8
        .value_kind:     hidden_global_offset_y
      - .offset:         3968
        .size:           8
        .value_kind:     hidden_global_offset_z
      - .offset:         3976
        .size:           2
        .value_kind:     hidden_grid_dims
    .group_segment_fixed_size: 0
    .kernarg_segment_align: 16
    .kernarg_segment_size: 4168
    .language:       OpenCL C
    .language_version:
      - 2
      - 0
    .max_flat_workgroup_size: 512
    .name:           _ZN2at6native12_GLOBAL__N_125multi_tensor_apply_kernelINS1_28TensorListScalarListMetadataIN3c107complexIdEELi3EEENS1_26TernaryOpScalarListFunctorIS6_Li3ELi2ELi2EEEJNS0_11LerpFunctorIS6_EEEEEvT_T0_DpT1_
    .private_segment_fixed_size: 0
    .sgpr_count:     31
    .sgpr_spill_count: 0
    .symbol:         _ZN2at6native12_GLOBAL__N_125multi_tensor_apply_kernelINS1_28TensorListScalarListMetadataIN3c107complexIdEELi3EEENS1_26TernaryOpScalarListFunctorIS6_Li3ELi2ELi2EEEJNS0_11LerpFunctorIS6_EEEEEvT_T0_DpT1_.kd
    .uniform_work_group_size: 1
    .uses_dynamic_stack: false
    .vgpr_count:     70
    .vgpr_spill_count: 0
    .wavefront_size: 32
    .workgroup_processor_mode: 1
  - .args:
      - .offset:         0
        .size:           3520
        .value_kind:     by_value
      - .offset:         3520
        .size:           1
        .value_kind:     by_value
      - .offset:         3521
        .size:           1
        .value_kind:     by_value
      - .offset:         3528
        .size:           4
        .value_kind:     hidden_block_count_x
      - .offset:         3532
        .size:           4
        .value_kind:     hidden_block_count_y
      - .offset:         3536
        .size:           4
        .value_kind:     hidden_block_count_z
      - .offset:         3540
        .size:           2
        .value_kind:     hidden_group_size_x
      - .offset:         3542
        .size:           2
        .value_kind:     hidden_group_size_y
      - .offset:         3544
        .size:           2
        .value_kind:     hidden_group_size_z
      - .offset:         3546
        .size:           2
        .value_kind:     hidden_remainder_x
      - .offset:         3548
        .size:           2
        .value_kind:     hidden_remainder_y
      - .offset:         3550
        .size:           2
        .value_kind:     hidden_remainder_z
      - .offset:         3568
        .size:           8
        .value_kind:     hidden_global_offset_x
      - .offset:         3576
        .size:           8
        .value_kind:     hidden_global_offset_y
      - .offset:         3584
        .size:           8
        .value_kind:     hidden_global_offset_z
      - .offset:         3592
        .size:           2
        .value_kind:     hidden_grid_dims
    .group_segment_fixed_size: 0
    .kernarg_segment_align: 8
    .kernarg_segment_size: 3784
    .language:       OpenCL C
    .language_version:
      - 2
      - 0
    .max_flat_workgroup_size: 512
    .name:           _ZN2at6native12_GLOBAL__N_125multi_tensor_apply_kernelINS1_28TensorListScalarListMetadataIN3c107complexIfEELi3EEENS1_26TernaryOpScalarListFunctorIS6_Li3ELi2ELi2EEEJNS0_11LerpFunctorIS6_EEEEEvT_T0_DpT1_
    .private_segment_fixed_size: 0
    .sgpr_count:     31
    .sgpr_spill_count: 0
    .symbol:         _ZN2at6native12_GLOBAL__N_125multi_tensor_apply_kernelINS1_28TensorListScalarListMetadataIN3c107complexIfEELi3EEENS1_26TernaryOpScalarListFunctorIS6_Li3ELi2ELi2EEEJNS0_11LerpFunctorIS6_EEEEEvT_T0_DpT1_.kd
    .uniform_work_group_size: 1
    .uses_dynamic_stack: false
    .vgpr_count:     48
    .vgpr_spill_count: 0
    .wavefront_size: 32
    .workgroup_processor_mode: 1
  - .args:
      - .offset:         0
        .size:           3328
        .value_kind:     by_value
      - .offset:         3328
        .size:           1
        .value_kind:     by_value
      - .offset:         3329
        .size:           1
        .value_kind:     by_value
      - .offset:         3336
        .size:           4
        .value_kind:     hidden_block_count_x
      - .offset:         3340
        .size:           4
        .value_kind:     hidden_block_count_y
      - .offset:         3344
        .size:           4
        .value_kind:     hidden_block_count_z
      - .offset:         3348
        .size:           2
        .value_kind:     hidden_group_size_x
      - .offset:         3350
        .size:           2
        .value_kind:     hidden_group_size_y
      - .offset:         3352
        .size:           2
        .value_kind:     hidden_group_size_z
      - .offset:         3354
        .size:           2
        .value_kind:     hidden_remainder_x
      - .offset:         3356
        .size:           2
        .value_kind:     hidden_remainder_y
      - .offset:         3358
        .size:           2
        .value_kind:     hidden_remainder_z
      - .offset:         3376
        .size:           8
        .value_kind:     hidden_global_offset_x
      - .offset:         3384
        .size:           8
        .value_kind:     hidden_global_offset_y
      - .offset:         3392
        .size:           8
        .value_kind:     hidden_global_offset_z
      - .offset:         3400
        .size:           2
        .value_kind:     hidden_grid_dims
    .group_segment_fixed_size: 0
    .kernarg_segment_align: 8
    .kernarg_segment_size: 3592
    .language:       OpenCL C
    .language_version:
      - 2
      - 0
    .max_flat_workgroup_size: 512
    .name:           _ZN2at6native12_GLOBAL__N_125multi_tensor_apply_kernelINS1_28TensorListScalarListMetadataIfLi3EEENS1_26TernaryOpScalarListFunctorIN3c104HalfELi3ELi2ELi2EEEJNS0_11LerpFunctorIfEEEEEvT_T0_DpT1_
    .private_segment_fixed_size: 0
    .sgpr_count:     29
    .sgpr_spill_count: 0
    .symbol:         _ZN2at6native12_GLOBAL__N_125multi_tensor_apply_kernelINS1_28TensorListScalarListMetadataIfLi3EEENS1_26TernaryOpScalarListFunctorIN3c104HalfELi3ELi2ELi2EEEJNS0_11LerpFunctorIfEEEEEvT_T0_DpT1_.kd
    .uniform_work_group_size: 1
    .uses_dynamic_stack: false
    .vgpr_count:     42
    .vgpr_spill_count: 0
    .wavefront_size: 32
    .workgroup_processor_mode: 1
  - .args:
      - .offset:         0
        .size:           3328
        .value_kind:     by_value
      - .offset:         3328
        .size:           1
        .value_kind:     by_value
      - .offset:         3329
        .size:           1
        .value_kind:     by_value
      - .offset:         3336
        .size:           4
        .value_kind:     hidden_block_count_x
      - .offset:         3340
        .size:           4
        .value_kind:     hidden_block_count_y
      - .offset:         3344
        .size:           4
        .value_kind:     hidden_block_count_z
      - .offset:         3348
        .size:           2
        .value_kind:     hidden_group_size_x
      - .offset:         3350
        .size:           2
        .value_kind:     hidden_group_size_y
      - .offset:         3352
        .size:           2
        .value_kind:     hidden_group_size_z
      - .offset:         3354
        .size:           2
        .value_kind:     hidden_remainder_x
      - .offset:         3356
        .size:           2
        .value_kind:     hidden_remainder_y
      - .offset:         3358
        .size:           2
        .value_kind:     hidden_remainder_z
      - .offset:         3376
        .size:           8
        .value_kind:     hidden_global_offset_x
      - .offset:         3384
        .size:           8
        .value_kind:     hidden_global_offset_y
      - .offset:         3392
        .size:           8
        .value_kind:     hidden_global_offset_z
      - .offset:         3400
        .size:           2
        .value_kind:     hidden_grid_dims
    .group_segment_fixed_size: 0
    .kernarg_segment_align: 8
    .kernarg_segment_size: 3592
    .language:       OpenCL C
    .language_version:
      - 2
      - 0
    .max_flat_workgroup_size: 512
    .name:           _ZN2at6native12_GLOBAL__N_125multi_tensor_apply_kernelINS1_28TensorListScalarListMetadataIfLi3EEENS1_26TernaryOpScalarListFunctorIN3c108BFloat16ELi3ELi2ELi2EEEJNS0_11LerpFunctorIfEEEEEvT_T0_DpT1_
    .private_segment_fixed_size: 0
    .sgpr_count:     25
    .sgpr_spill_count: 0
    .symbol:         _ZN2at6native12_GLOBAL__N_125multi_tensor_apply_kernelINS1_28TensorListScalarListMetadataIfLi3EEENS1_26TernaryOpScalarListFunctorIN3c108BFloat16ELi3ELi2ELi2EEEJNS0_11LerpFunctorIfEEEEEvT_T0_DpT1_.kd
    .uniform_work_group_size: 1
    .uses_dynamic_stack: false
    .vgpr_count:     41
    .vgpr_spill_count: 0
    .wavefront_size: 32
    .workgroup_processor_mode: 1
  - .args:
      - .offset:         0
        .size:           3648
        .value_kind:     by_value
      - .offset:         3648
        .size:           1
        .value_kind:     by_value
      - .offset:         3649
        .size:           1
        .value_kind:     by_value
      - .offset:         3656
        .size:           4
        .value_kind:     hidden_block_count_x
      - .offset:         3660
        .size:           4
        .value_kind:     hidden_block_count_y
      - .offset:         3664
        .size:           4
        .value_kind:     hidden_block_count_z
      - .offset:         3668
        .size:           2
        .value_kind:     hidden_group_size_x
      - .offset:         3670
        .size:           2
        .value_kind:     hidden_group_size_y
      - .offset:         3672
        .size:           2
        .value_kind:     hidden_group_size_z
      - .offset:         3674
        .size:           2
        .value_kind:     hidden_remainder_x
      - .offset:         3676
        .size:           2
        .value_kind:     hidden_remainder_y
      - .offset:         3678
        .size:           2
        .value_kind:     hidden_remainder_z
      - .offset:         3696
        .size:           8
        .value_kind:     hidden_global_offset_x
      - .offset:         3704
        .size:           8
        .value_kind:     hidden_global_offset_y
      - .offset:         3712
        .size:           8
        .value_kind:     hidden_global_offset_z
      - .offset:         3720
        .size:           2
        .value_kind:     hidden_grid_dims
    .group_segment_fixed_size: 0
    .kernarg_segment_align: 8
    .kernarg_segment_size: 3912
    .language:       OpenCL C
    .language_version:
      - 2
      - 0
    .max_flat_workgroup_size: 512
    .name:           _ZN2at6native12_GLOBAL__N_125multi_tensor_apply_kernelINS1_28TensorListScalarListMetadataIdLi2EEENS1_26TernaryOpScalarListFunctorIdLi2ELi2ELi0EEEJNS0_11LerpFunctorIdEEEEEvT_T0_DpT1_
    .private_segment_fixed_size: 0
    .sgpr_count:     28
    .sgpr_spill_count: 0
    .symbol:         _ZN2at6native12_GLOBAL__N_125multi_tensor_apply_kernelINS1_28TensorListScalarListMetadataIdLi2EEENS1_26TernaryOpScalarListFunctorIdLi2ELi2ELi0EEEJNS0_11LerpFunctorIdEEEEEvT_T0_DpT1_.kd
    .uniform_work_group_size: 1
    .uses_dynamic_stack: false
    .vgpr_count:     43
    .vgpr_spill_count: 0
    .wavefront_size: 32
    .workgroup_processor_mode: 1
  - .args:
      - .offset:         0
        .size:           3392
        .value_kind:     by_value
      - .offset:         3392
        .size:           1
        .value_kind:     by_value
      - .offset:         3393
        .size:           1
        .value_kind:     by_value
      - .offset:         3400
        .size:           4
        .value_kind:     hidden_block_count_x
      - .offset:         3404
        .size:           4
        .value_kind:     hidden_block_count_y
      - .offset:         3408
        .size:           4
        .value_kind:     hidden_block_count_z
      - .offset:         3412
        .size:           2
        .value_kind:     hidden_group_size_x
      - .offset:         3414
        .size:           2
        .value_kind:     hidden_group_size_y
      - .offset:         3416
        .size:           2
        .value_kind:     hidden_group_size_z
      - .offset:         3418
        .size:           2
        .value_kind:     hidden_remainder_x
      - .offset:         3420
        .size:           2
        .value_kind:     hidden_remainder_y
      - .offset:         3422
        .size:           2
        .value_kind:     hidden_remainder_z
      - .offset:         3440
        .size:           8
        .value_kind:     hidden_global_offset_x
      - .offset:         3448
        .size:           8
        .value_kind:     hidden_global_offset_y
      - .offset:         3456
        .size:           8
        .value_kind:     hidden_global_offset_z
      - .offset:         3464
        .size:           2
        .value_kind:     hidden_grid_dims
    .group_segment_fixed_size: 0
    .kernarg_segment_align: 8
    .kernarg_segment_size: 3656
    .language:       OpenCL C
    .language_version:
      - 2
      - 0
    .max_flat_workgroup_size: 512
    .name:           _ZN2at6native12_GLOBAL__N_125multi_tensor_apply_kernelINS1_28TensorListScalarListMetadataIfLi2EEENS1_26TernaryOpScalarListFunctorIfLi2ELi2ELi0EEEJNS0_11LerpFunctorIfEEEEEvT_T0_DpT1_
    .private_segment_fixed_size: 0
    .sgpr_count:     24
    .sgpr_spill_count: 0
    .symbol:         _ZN2at6native12_GLOBAL__N_125multi_tensor_apply_kernelINS1_28TensorListScalarListMetadataIfLi2EEENS1_26TernaryOpScalarListFunctorIfLi2ELi2ELi0EEEJNS0_11LerpFunctorIfEEEEEvT_T0_DpT1_.kd
    .uniform_work_group_size: 1
    .uses_dynamic_stack: false
    .vgpr_count:     34
    .vgpr_spill_count: 0
    .wavefront_size: 32
    .workgroup_processor_mode: 1
  - .args:
      - .offset:         0
        .size:           4000
        .value_kind:     by_value
      - .offset:         4000
        .size:           1
        .value_kind:     by_value
      - .offset:         4001
        .size:           1
        .value_kind:     by_value
      - .offset:         4008
        .size:           4
        .value_kind:     hidden_block_count_x
      - .offset:         4012
        .size:           4
        .value_kind:     hidden_block_count_y
      - .offset:         4016
        .size:           4
        .value_kind:     hidden_block_count_z
      - .offset:         4020
        .size:           2
        .value_kind:     hidden_group_size_x
      - .offset:         4022
        .size:           2
        .value_kind:     hidden_group_size_y
      - .offset:         4024
        .size:           2
        .value_kind:     hidden_group_size_z
      - .offset:         4026
        .size:           2
        .value_kind:     hidden_remainder_x
      - .offset:         4028
        .size:           2
        .value_kind:     hidden_remainder_y
      - .offset:         4030
        .size:           2
        .value_kind:     hidden_remainder_z
      - .offset:         4048
        .size:           8
        .value_kind:     hidden_global_offset_x
      - .offset:         4056
        .size:           8
        .value_kind:     hidden_global_offset_y
      - .offset:         4064
        .size:           8
        .value_kind:     hidden_global_offset_z
      - .offset:         4072
        .size:           2
        .value_kind:     hidden_grid_dims
    .group_segment_fixed_size: 0
    .kernarg_segment_align: 16
    .kernarg_segment_size: 4264
    .language:       OpenCL C
    .language_version:
      - 2
      - 0
    .max_flat_workgroup_size: 512
    .name:           _ZN2at6native12_GLOBAL__N_125multi_tensor_apply_kernelINS1_28TensorListScalarListMetadataIN3c107complexIdEELi2EEENS1_26TernaryOpScalarListFunctorIS6_Li2ELi2ELi0EEEJNS0_11LerpFunctorIS6_EEEEEvT_T0_DpT1_
    .private_segment_fixed_size: 0
    .sgpr_count:     27
    .sgpr_spill_count: 0
    .symbol:         _ZN2at6native12_GLOBAL__N_125multi_tensor_apply_kernelINS1_28TensorListScalarListMetadataIN3c107complexIdEELi2EEENS1_26TernaryOpScalarListFunctorIS6_Li2ELi2ELi0EEEJNS0_11LerpFunctorIS6_EEEEEvT_T0_DpT1_.kd
    .uniform_work_group_size: 1
    .uses_dynamic_stack: false
    .vgpr_count:     62
    .vgpr_spill_count: 0
    .wavefront_size: 32
    .workgroup_processor_mode: 1
  - .args:
      - .offset:         0
        .size:           3648
        .value_kind:     by_value
      - .offset:         3648
        .size:           1
        .value_kind:     by_value
      - .offset:         3649
        .size:           1
        .value_kind:     by_value
      - .offset:         3656
        .size:           4
        .value_kind:     hidden_block_count_x
      - .offset:         3660
        .size:           4
        .value_kind:     hidden_block_count_y
      - .offset:         3664
        .size:           4
        .value_kind:     hidden_block_count_z
      - .offset:         3668
        .size:           2
        .value_kind:     hidden_group_size_x
      - .offset:         3670
        .size:           2
        .value_kind:     hidden_group_size_y
      - .offset:         3672
        .size:           2
        .value_kind:     hidden_group_size_z
      - .offset:         3674
        .size:           2
        .value_kind:     hidden_remainder_x
      - .offset:         3676
        .size:           2
        .value_kind:     hidden_remainder_y
      - .offset:         3678
        .size:           2
        .value_kind:     hidden_remainder_z
      - .offset:         3696
        .size:           8
        .value_kind:     hidden_global_offset_x
      - .offset:         3704
        .size:           8
        .value_kind:     hidden_global_offset_y
      - .offset:         3712
        .size:           8
        .value_kind:     hidden_global_offset_z
      - .offset:         3720
        .size:           2
        .value_kind:     hidden_grid_dims
    .group_segment_fixed_size: 0
    .kernarg_segment_align: 8
    .kernarg_segment_size: 3912
    .language:       OpenCL C
    .language_version:
      - 2
      - 0
    .max_flat_workgroup_size: 512
    .name:           _ZN2at6native12_GLOBAL__N_125multi_tensor_apply_kernelINS1_28TensorListScalarListMetadataIN3c107complexIfEELi2EEENS1_26TernaryOpScalarListFunctorIS6_Li2ELi2ELi0EEEJNS0_11LerpFunctorIS6_EEEEEvT_T0_DpT1_
    .private_segment_fixed_size: 0
    .sgpr_count:     26
    .sgpr_spill_count: 0
    .symbol:         _ZN2at6native12_GLOBAL__N_125multi_tensor_apply_kernelINS1_28TensorListScalarListMetadataIN3c107complexIfEELi2EEENS1_26TernaryOpScalarListFunctorIS6_Li2ELi2ELi0EEEJNS0_11LerpFunctorIS6_EEEEEvT_T0_DpT1_.kd
    .uniform_work_group_size: 1
    .uses_dynamic_stack: false
    .vgpr_count:     40
    .vgpr_spill_count: 0
    .wavefront_size: 32
    .workgroup_processor_mode: 1
  - .args:
      - .offset:         0
        .size:           3392
        .value_kind:     by_value
      - .offset:         3392
        .size:           1
        .value_kind:     by_value
      - .offset:         3393
        .size:           1
        .value_kind:     by_value
      - .offset:         3400
        .size:           4
        .value_kind:     hidden_block_count_x
      - .offset:         3404
        .size:           4
        .value_kind:     hidden_block_count_y
      - .offset:         3408
        .size:           4
        .value_kind:     hidden_block_count_z
      - .offset:         3412
        .size:           2
        .value_kind:     hidden_group_size_x
      - .offset:         3414
        .size:           2
        .value_kind:     hidden_group_size_y
      - .offset:         3416
        .size:           2
        .value_kind:     hidden_group_size_z
      - .offset:         3418
        .size:           2
        .value_kind:     hidden_remainder_x
      - .offset:         3420
        .size:           2
        .value_kind:     hidden_remainder_y
      - .offset:         3422
        .size:           2
        .value_kind:     hidden_remainder_z
      - .offset:         3440
        .size:           8
        .value_kind:     hidden_global_offset_x
      - .offset:         3448
        .size:           8
        .value_kind:     hidden_global_offset_y
      - .offset:         3456
        .size:           8
        .value_kind:     hidden_global_offset_z
      - .offset:         3464
        .size:           2
        .value_kind:     hidden_grid_dims
    .group_segment_fixed_size: 0
    .kernarg_segment_align: 8
    .kernarg_segment_size: 3656
    .language:       OpenCL C
    .language_version:
      - 2
      - 0
    .max_flat_workgroup_size: 512
    .name:           _ZN2at6native12_GLOBAL__N_125multi_tensor_apply_kernelINS1_28TensorListScalarListMetadataIfLi2EEENS1_26TernaryOpScalarListFunctorIN3c104HalfELi2ELi2ELi0EEEJNS0_11LerpFunctorIfEEEEEvT_T0_DpT1_
    .private_segment_fixed_size: 0
    .sgpr_count:     24
    .sgpr_spill_count: 0
    .symbol:         _ZN2at6native12_GLOBAL__N_125multi_tensor_apply_kernelINS1_28TensorListScalarListMetadataIfLi2EEENS1_26TernaryOpScalarListFunctorIN3c104HalfELi2ELi2ELi0EEEJNS0_11LerpFunctorIfEEEEEvT_T0_DpT1_.kd
    .uniform_work_group_size: 1
    .uses_dynamic_stack: false
    .vgpr_count:     34
    .vgpr_spill_count: 0
    .wavefront_size: 32
    .workgroup_processor_mode: 1
  - .args:
      - .offset:         0
        .size:           3392
        .value_kind:     by_value
      - .offset:         3392
        .size:           1
        .value_kind:     by_value
      - .offset:         3393
        .size:           1
        .value_kind:     by_value
      - .offset:         3400
        .size:           4
        .value_kind:     hidden_block_count_x
      - .offset:         3404
        .size:           4
        .value_kind:     hidden_block_count_y
      - .offset:         3408
        .size:           4
        .value_kind:     hidden_block_count_z
      - .offset:         3412
        .size:           2
        .value_kind:     hidden_group_size_x
      - .offset:         3414
        .size:           2
        .value_kind:     hidden_group_size_y
      - .offset:         3416
        .size:           2
        .value_kind:     hidden_group_size_z
      - .offset:         3418
        .size:           2
        .value_kind:     hidden_remainder_x
      - .offset:         3420
        .size:           2
        .value_kind:     hidden_remainder_y
      - .offset:         3422
        .size:           2
        .value_kind:     hidden_remainder_z
      - .offset:         3440
        .size:           8
        .value_kind:     hidden_global_offset_x
      - .offset:         3448
        .size:           8
        .value_kind:     hidden_global_offset_y
      - .offset:         3456
        .size:           8
        .value_kind:     hidden_global_offset_z
      - .offset:         3464
        .size:           2
        .value_kind:     hidden_grid_dims
    .group_segment_fixed_size: 0
    .kernarg_segment_align: 8
    .kernarg_segment_size: 3656
    .language:       OpenCL C
    .language_version:
      - 2
      - 0
    .max_flat_workgroup_size: 512
    .name:           _ZN2at6native12_GLOBAL__N_125multi_tensor_apply_kernelINS1_28TensorListScalarListMetadataIfLi2EEENS1_26TernaryOpScalarListFunctorIN3c108BFloat16ELi2ELi2ELi0EEEJNS0_11LerpFunctorIfEEEEEvT_T0_DpT1_
    .private_segment_fixed_size: 0
    .sgpr_count:     22
    .sgpr_spill_count: 0
    .symbol:         _ZN2at6native12_GLOBAL__N_125multi_tensor_apply_kernelINS1_28TensorListScalarListMetadataIfLi2EEENS1_26TernaryOpScalarListFunctorIN3c108BFloat16ELi2ELi2ELi0EEEJNS0_11LerpFunctorIfEEEEEvT_T0_DpT1_.kd
    .uniform_work_group_size: 1
    .uses_dynamic_stack: false
    .vgpr_count:     33
    .vgpr_spill_count: 0
    .wavefront_size: 32
    .workgroup_processor_mode: 1
amdhsa.target:   amdgcn-amd-amdhsa--gfx1100
amdhsa.version:
  - 1
  - 2
...

	.end_amdgpu_metadata
